;; amdgpu-corpus repo=ROCm/rocFFT kind=compiled arch=gfx1201 opt=O3
	.text
	.amdgcn_target "amdgcn-amd-amdhsa--gfx1201"
	.amdhsa_code_object_version 6
	.protected	fft_rtc_back_len289_factors_17_17_wgs_119_tpt_17_dp_op_CI_CI_sbrc_z_xy_unaligned_dirReg ; -- Begin function fft_rtc_back_len289_factors_17_17_wgs_119_tpt_17_dp_op_CI_CI_sbrc_z_xy_unaligned_dirReg
	.globl	fft_rtc_back_len289_factors_17_17_wgs_119_tpt_17_dp_op_CI_CI_sbrc_z_xy_unaligned_dirReg
	.p2align	8
	.type	fft_rtc_back_len289_factors_17_17_wgs_119_tpt_17_dp_op_CI_CI_sbrc_z_xy_unaligned_dirReg,@function
fft_rtc_back_len289_factors_17_17_wgs_119_tpt_17_dp_op_CI_CI_sbrc_z_xy_unaligned_dirReg: ; @fft_rtc_back_len289_factors_17_17_wgs_119_tpt_17_dp_op_CI_CI_sbrc_z_xy_unaligned_dirReg
; %bb.0:
	s_load_b256 s[4:11], s[0:1], 0x8
	v_mov_b32_e32 v255, v0
	s_wait_kmcnt 0x0
	s_load_b128 s[12:15], s[6:7], 0x8
	s_wait_kmcnt 0x0
	s_add_co_i32 s2, s12, -1
	s_delay_alu instid0(SALU_CYCLE_1) | instskip(NEXT) | instid1(SALU_CYCLE_1)
	s_mul_hi_u32 s3, s2, 0x24924925
	s_sub_co_i32 s2, s2, s3
	s_delay_alu instid0(SALU_CYCLE_1) | instskip(NEXT) | instid1(SALU_CYCLE_1)
	s_lshr_b32 s2, s2, 1
	s_add_co_i32 s2, s2, s3
	s_delay_alu instid0(SALU_CYCLE_1) | instskip(NEXT) | instid1(SALU_CYCLE_1)
	s_lshr_b32 s2, s2, 2
	s_add_co_i32 s3, s2, 1
	s_delay_alu instid0(SALU_CYCLE_1) | instskip(SKIP_3) | instid1(SALU_CYCLE_2)
	s_mul_i32 s6, s3, s14
	s_cvt_f32_u32 s13, s3
	s_cvt_f32_u32 s7, s6
	s_sub_co_i32 s14, 0, s6
	v_rcp_iflag_f32_e32 v0, s7
	s_delay_alu instid0(TRANS32_DEP_1) | instskip(SKIP_1) | instid1(VALU_DEP_1)
	v_readfirstlane_b32 s7, v0
	v_rcp_iflag_f32_e32 v0, s13
	s_mul_f32 s7, s7, 0x4f7ffffe
	s_wait_alu 0xfffe
	s_delay_alu instid0(SALU_CYCLE_2) | instskip(SKIP_1) | instid1(SALU_CYCLE_2)
	s_cvt_u32_f32 s7, s7
	s_wait_alu 0xfffe
	s_mul_i32 s14, s14, s7
	s_delay_alu instid0(SALU_CYCLE_1) | instskip(NEXT) | instid1(TRANS32_DEP_1)
	s_mul_hi_u32 s13, s7, s14
	v_readfirstlane_b32 s14, v0
	s_wait_alu 0xfffe
	s_add_co_i32 s7, s7, s13
	s_wait_alu 0xfffe
	s_mul_hi_u32 s7, ttmp9, s7
	s_mul_f32 s14, s14, 0x4f7ffffe
	s_wait_alu 0xfffe
	s_mul_i32 s13, s7, s6
	s_add_co_i32 s15, s7, 1
	s_wait_alu 0xfffe
	s_sub_co_i32 s13, ttmp9, s13
	s_wait_alu 0xfffe
	s_sub_co_i32 s16, s13, s6
	s_cmp_ge_u32 s13, s6
	s_cselect_b32 s7, s15, s7
	s_cselect_b32 s13, s16, s13
	s_wait_alu 0xfffe
	s_add_co_i32 s15, s7, 1
	s_cmp_ge_u32 s13, s6
	s_cvt_u32_f32 s13, s14
	s_cselect_b32 s14, s15, s7
	s_not_b32 s2, s2
	s_mul_i32 s6, s14, s6
	s_wait_alu 0xfffe
	s_mul_i32 s2, s2, s13
	s_sub_co_i32 s6, ttmp9, s6
	s_mul_hi_u32 s2, s13, s2
	s_load_b128 s[16:19], s[8:9], 0x0
	s_add_co_i32 s13, s13, s2
	s_wait_alu 0xfffe
	s_mul_hi_u32 s2, s6, s13
	s_mul_hi_u32 s13, ttmp9, s13
	s_mul_i32 s7, s2, s3
	s_wait_alu 0xfffe
	s_mul_i32 s13, s13, s3
	s_sub_co_i32 s6, s6, s7
	s_add_co_i32 s7, s2, 1
	s_wait_alu 0xfffe
	s_sub_co_i32 s15, s6, s3
	s_cmp_ge_u32 s6, s3
	s_cselect_b32 s2, s7, s2
	s_cselect_b32 s6, s15, s6
	s_add_co_i32 s7, s2, 1
	s_wait_alu 0xfffe
	s_cmp_ge_u32 s6, s3
	s_mov_b32 s15, 0
	s_cselect_b32 s33, s7, s2
	s_sub_co_i32 s2, ttmp9, s13
	s_load_b32 s13, s[8:9], 0x10
	s_sub_co_i32 s6, s2, s3
	s_cmp_ge_u32 s2, s3
	s_mov_b32 s25, s15
	s_wait_alu 0xfffe
	s_cselect_b32 s2, s6, s2
	s_delay_alu instid0(SALU_CYCLE_1)
	s_sub_co_i32 s6, s2, s3
	s_cmp_ge_u32 s2, s3
	s_wait_kmcnt 0x0
	s_wait_alu 0xfffe
	s_cselect_b32 s19, s6, s2
	s_lshl_b64 s[2:3], s[4:5], 3
	s_delay_alu instid0(SALU_CYCLE_1)
	s_add_nc_u64 s[4:5], s[8:9], s[2:3]
	s_load_b64 s[22:23], s[4:5], 0x0
	s_load_b64 s[20:21], s[0:1], 0x58
	s_load_b128 s[4:7], s[10:11], 0x0
	s_add_nc_u64 s[8:9], s[10:11], s[2:3]
	s_clause 0x1
	s_load_b64 s[2:3], s[10:11], 0x10
	s_load_b64 s[8:9], s[8:9], 0x0
	s_mul_i32 s10, s19, 7
	s_wait_kmcnt 0x0
	s_mov_b32 s7, -1
	s_mul_i32 s11, s10, s18
	s_mul_i32 s3, s33, s13
	s_add_co_i32 s13, s10, 7
	s_add_co_i32 s24, s11, s3
	s_wait_alu 0xfffe
	s_cmp_le_u32 s13, s12
	s_cselect_b32 s3, -1, 0
	s_delay_alu instid0(SALU_CYCLE_1) | instskip(SKIP_1) | instid1(SALU_CYCLE_1)
	s_and_b32 vcc_lo, exec_lo, s3
	s_mul_u64 s[22:23], s[22:23], s[14:15]
	s_add_nc_u64 s[22:23], s[22:23], s[24:25]
	s_cbranch_vccnz .LBB0_4
; %bb.1:
	v_dual_mov_b32 v2, 0 :: v_dual_mov_b32 v3, v255
	s_lshl_b64 s[24:25], s[22:23], 4
	s_mov_b32 s7, s15
	s_add_nc_u64 s[24:25], s[20:21], s[24:25]
.LBB0_2:                                ; =>This Inner Loop Header: Depth=1
	s_delay_alu instid0(VALU_DEP_1) | instskip(NEXT) | instid1(VALU_DEP_1)
	v_and_b32_e32 v0, 0xffff, v3
	v_mul_u32_u24_e32 v0, 0xe2c5, v0
	s_delay_alu instid0(VALU_DEP_1) | instskip(NEXT) | instid1(VALU_DEP_1)
	v_lshrrev_b32_e32 v0, 24, v0
	v_mul_lo_u16 v1, 0x121, v0
	s_delay_alu instid0(VALU_DEP_1) | instskip(SKIP_1) | instid1(VALU_DEP_2)
	v_sub_nc_u16 v8, v3, v1
	v_add_nc_u32_e32 v3, 0x77, v3
	v_and_b32_e32 v6, 0xffff, v8
	s_delay_alu instid0(VALU_DEP_1) | instskip(NEXT) | instid1(VALU_DEP_1)
	v_mad_co_u64_u32 v[4:5], null, s16, v6, 0
	v_mov_b32_e32 v1, v5
	s_delay_alu instid0(VALU_DEP_1) | instskip(SKIP_2) | instid1(VALU_DEP_1)
	v_mad_co_u64_u32 v[5:6], null, s17, v6, v[1:2]
	v_mul_lo_u32 v1, s18, v0
	v_mad_u16 v0, v8, 7, v0
	v_and_b32_e32 v0, 0xffff, v0
	s_delay_alu instid0(VALU_DEP_4) | instskip(NEXT) | instid1(VALU_DEP_4)
	v_lshlrev_b64_e32 v[4:5], 4, v[4:5]
	v_lshlrev_b64_e32 v[6:7], 4, v[1:2]
	s_delay_alu instid0(VALU_DEP_3) | instskip(NEXT) | instid1(VALU_DEP_3)
	v_lshl_add_u32 v0, v0, 4, 0
	v_add_co_u32 v1, vcc_lo, s24, v4
	s_wait_alu 0xfffd
	s_delay_alu instid0(VALU_DEP_4) | instskip(NEXT) | instid1(VALU_DEP_2)
	v_add_co_ci_u32_e32 v5, vcc_lo, s25, v5, vcc_lo
	v_add_co_u32 v4, vcc_lo, v1, v6
	s_wait_alu 0xfffd
	s_delay_alu instid0(VALU_DEP_2)
	v_add_co_ci_u32_e32 v5, vcc_lo, v5, v7, vcc_lo
	v_cmp_lt_u32_e32 vcc_lo, 0x7e6, v3
	global_load_b128 v[4:7], v[4:5], off
	s_wait_alu 0xfffe
	s_or_b32 s7, vcc_lo, s7
	s_wait_loadcnt 0x0
	ds_store_b128 v0, v[4:7]
	s_wait_alu 0xfffe
	s_and_not1_b32 exec_lo, exec_lo, s7
	s_cbranch_execnz .LBB0_2
; %bb.3:
	s_or_b32 exec_lo, exec_lo, s7
	s_mov_b32 s7, 0
.LBB0_4:
	v_and_b32_e32 v3, 0xffff, v255
	s_wait_alu 0xfffe
	s_and_b32 vcc_lo, exec_lo, s7
	s_wait_alu 0xfffe
	s_cbranch_vccz .LBB0_6
; %bb.5:
	v_add_nc_u16 v0, v255, 0x77
	v_mad_co_u64_u32 v[4:5], null, s16, v3, 0
	v_add_nc_u16 v12, v255, 0xee
	v_add_nc_u16 v13, v255, 0x165
	s_delay_alu instid0(VALU_DEP_4)
	v_and_b32_e32 v0, 0xffff, v0
	v_add_nc_u16 v19, v255, 0x51d
	v_add_nc_u16 v21, v255, 0x60b
	;; [unrolled: 1-line block ×3, first 2 shown]
	v_mov_b32_e32 v1, v5
	v_mad_co_u64_u32 v[6:7], null, s16, v0, 0
	v_dual_mov_b32 v2, 0 :: v_dual_and_b32 v25, 0xffff, v12
	v_add_nc_u16 v14, v255, 0x1dc
	v_add_nc_u16 v15, v255, 0x253
	v_and_b32_e32 v34, 0xffff, v19
	v_dual_mov_b32 v5, v7 :: v_dual_and_b32 v36, 0xffff, v21
	v_mad_co_u64_u32 v[7:8], null, s17, v3, v[1:2]
	v_add_nc_u16 v1, v255, 0x3b8
	v_and_b32_e32 v39, 0xffff, v24
	s_delay_alu instid0(VALU_DEP_4) | instskip(SKIP_1) | instid1(VALU_DEP_4)
	v_mad_co_u64_u32 v[8:9], null, s17, v0, v[5:6]
	v_mul_u32_u24_e32 v25, 0xe3, v25
	v_and_b32_e32 v31, 0xffff, v1
	v_dual_mov_b32 v5, v7 :: v_dual_and_b32 v26, 0xffff, v13
	v_add_nc_u16 v16, v255, 0x2ca
	v_and_b32_e32 v27, 0xffff, v14
	s_delay_alu instid0(VALU_DEP_4) | instskip(SKIP_3) | instid1(VALU_DEP_4)
	v_mul_u32_u24_e32 v31, 0x717, v31
	v_dual_mov_b32 v7, v8 :: v_dual_and_b32 v28, 0xffff, v15
	v_mul_u32_u24_e32 v26, 0xe3, v26
	v_mul_u32_u24_e32 v34, 0x717, v34
	v_lshrrev_b32_e32 v78, 19, v31
	v_mul_u32_u24_e32 v36, 0x717, v36
	v_mul_u32_u24_e32 v39, 0x717, v39
	v_lshrrev_b32_e32 v72, 16, v25
	v_lshrrev_b32_e32 v73, 16, v26
	v_mul_lo_u16 v31, 0x121, v78
	v_and_b32_e32 v29, 0xffff, v16
	v_mul_u32_u24_e32 v27, 0xe3, v27
	v_mul_u32_u24_e32 v28, 0xe3, v28
	v_lshrrev_b32_e32 v81, 19, v34
	v_lshrrev_b32_e32 v83, 19, v36
	;; [unrolled: 1-line block ×3, first 2 shown]
	v_mul_lo_u16 v25, 0x121, v72
	v_mul_lo_u16 v26, 0x121, v73
	v_sub_nc_u16 v93, v1, v31
	v_add_nc_u16 v20, v255, 0x594
	v_mul_u32_u24_e32 v29, 0xe3, v29
	v_lshrrev_b32_e32 v74, 16, v27
	v_lshrrev_b32_e32 v75, 16, v28
	v_mul_lo_u16 v34, 0x121, v81
	v_mul_lo_u16 v36, 0x121, v83
	;; [unrolled: 1-line block ×3, first 2 shown]
	v_sub_nc_u16 v87, v12, v25
	v_sub_nc_u16 v88, v13, v26
	v_and_b32_e32 v41, 0xffff, v93
	v_and_b32_e32 v35, 0xffff, v20
	v_lshrrev_b32_e32 v76, 16, v29
	v_mul_lo_u16 v27, 0x121, v74
	v_mul_lo_u16 v28, 0x121, v75
	v_sub_nc_u16 v95, v19, v34
	v_sub_nc_u16 v97, v21, v36
	;; [unrolled: 1-line block ×3, first 2 shown]
	v_and_b32_e32 v34, 0xffff, v87
	v_mad_co_u64_u32 v[24:25], null, s16, v41, 0
	v_and_b32_e32 v36, 0xffff, v88
	v_add_nc_u16 v18, v255, 0x42f
	v_mul_u32_u24_e32 v35, 0x717, v35
	v_mul_lo_u16 v29, 0x121, v76
	v_add_nc_u16 v0, v255, 0x4a6
	v_sub_nc_u16 v89, v14, v27
	v_sub_nc_u16 v90, v15, v28
	v_mad_co_u64_u32 v[12:13], null, s16, v34, 0
	v_mad_co_u64_u32 v[14:15], null, s16, v36, 0
	v_add_nc_u16 v17, v255, 0x341
	v_and_b32_e32 v32, 0xffff, v18
	v_lshrrev_b32_e32 v82, 19, v35
	v_sub_nc_u16 v91, v16, v29
	v_and_b32_e32 v33, 0xffff, v0
	v_add_nc_u16 v22, v255, 0x682
	v_add_nc_u16 v23, v255, 0x6f9
	v_dual_mov_b32 v1, v13 :: v_dual_and_b32 v30, 0xffff, v17
	v_mul_lo_u16 v35, 0x121, v82
	v_and_b32_e32 v39, 0xffff, v91
	v_mov_b32_e32 v13, v15
	v_mul_u32_u24_e32 v32, 0x717, v32
	v_mul_u32_u24_e32 v33, 0x717, v33
	v_and_b32_e32 v37, 0xffff, v22
	v_mul_u32_u24_e32 v30, 0xe3, v30
	v_sub_nc_u16 v96, v20, v35
	v_lshrrev_b32_e32 v79, 19, v32
	v_mad_co_u64_u32 v[20:21], null, s16, v39, 0
	v_and_b32_e32 v38, 0xffff, v23
	v_lshrrev_b32_e32 v80, 19, v33
	v_mul_u32_u24_e32 v37, 0x717, v37
	v_lshrrev_b32_e32 v77, 16, v30
	v_mul_lo_u16 v32, 0x121, v79
	v_mul_u32_u24_e32 v38, 0x717, v38
	v_mul_lo_u16 v33, 0x121, v80
	v_lshrrev_b32_e32 v84, 19, v37
	v_mul_lo_u16 v30, 0x121, v77
	v_sub_nc_u16 v94, v18, v32
	v_lshrrev_b32_e32 v85, 19, v38
	v_and_b32_e32 v45, 0xffff, v95
	v_sub_nc_u16 v0, v0, v33
	v_mul_lo_u16 v37, 0x121, v84
	v_sub_nc_u16 v92, v17, v30
	v_mul_lo_u16 v38, 0x121, v85
	v_mad_co_u64_u32 v[30:31], null, s16, v45, 0
	v_and_b32_e32 v42, 0xffff, v94
	v_and_b32_e32 v43, 0xffff, v0
	v_sub_nc_u16 v98, v22, v37
	v_and_b32_e32 v37, 0xffff, v89
	v_sub_nc_u16 v99, v23, v38
	v_mad_co_u64_u32 v[26:27], null, s16, v42, 0
	v_and_b32_e32 v38, 0xffff, v90
	v_mad_co_u64_u32 v[28:29], null, s16, v43, 0
	v_and_b32_e32 v40, 0xffff, v92
	v_mad_co_u64_u32 v[16:17], null, s16, v37, 0
	s_delay_alu instid0(VALU_DEP_4) | instskip(NEXT) | instid1(VALU_DEP_3)
	v_mad_co_u64_u32 v[18:19], null, s16, v38, 0
	v_mad_co_u64_u32 v[22:23], null, s16, v40, 0
	v_and_b32_e32 v47, 0xffff, v96
	v_and_b32_e32 v49, 0xffff, v97
	v_dual_mov_b32 v15, v17 :: v_dual_and_b32 v64, 0xffff, v100
	v_mov_b32_e32 v17, v19
	v_mov_b32_e32 v19, v21
	;; [unrolled: 1-line block ×3, first 2 shown]
	v_mad_co_u64_u32 v[34:35], null, s17, v34, v[1:2]
	v_mov_b32_e32 v23, v25
	v_mad_co_u64_u32 v[35:36], null, s17, v36, v[13:14]
	v_mov_b32_e32 v13, v29
	v_mov_b32_e32 v1, v27
	v_mad_co_u64_u32 v[36:37], null, s17, v37, v[15:16]
	v_mad_co_u64_u32 v[37:38], null, s17, v38, v[17:18]
	;; [unrolled: 1-line block ×6, first 2 shown]
	v_mov_b32_e32 v15, v31
	v_mad_co_u64_u32 v[41:42], null, s17, v42, v[1:2]
	v_mad_co_u64_u32 v[42:43], null, s17, v43, v[13:14]
	;; [unrolled: 1-line block ×3, first 2 shown]
	v_mul_lo_u32 v1, s18, v72
	v_mov_b32_e32 v17, v33
	v_mad_co_u64_u32 v[45:46], null, s17, v45, v[15:16]
	v_and_b32_e32 v25, 0xffff, v98
	v_mov_b32_e32 v13, v34
	v_dual_mov_b32 v19, v44 :: v_dual_and_b32 v44, 0xffff, v99
	v_mad_co_u64_u32 v[46:47], null, s17, v47, v[17:18]
	v_lshlrev_b64_e32 v[47:48], 4, v[1:2]
	v_mul_lo_u32 v1, s18, v73
	v_mov_b32_e32 v15, v35
	v_mad_co_u64_u32 v[34:35], null, s17, v49, v[19:20]
	v_mov_b32_e32 v17, v36
	v_mad_co_u64_u32 v[52:53], null, s16, v25, 0
	v_mad_co_u64_u32 v[54:55], null, s16, v44, 0
	v_lshlrev_b64_e32 v[35:36], 4, v[1:2]
	v_mul_lo_u32 v1, s18, v74
	v_lshlrev_b64_e32 v[4:5], 4, v[4:5]
	v_mad_co_u64_u32 v[56:57], null, s16, v64, 0
	v_mov_b32_e32 v23, v53
	s_lshl_b64 s[22:23], s[22:23], 4
	v_lshlrev_b64_e32 v[6:7], 4, v[6:7]
	v_mov_b32_e32 v19, v37
	v_lshlrev_b64_e32 v[49:50], 4, v[1:2]
	v_mul_lo_u32 v1, s18, v75
	v_mov_b32_e32 v21, v38
	v_mad_co_u64_u32 v[37:38], null, s17, v25, v[23:24]
	v_mov_b32_e32 v25, v40
	v_mad_u16 v0, v0, 7, v80
	v_mov_b32_e32 v23, v39
	s_add_nc_u64 s[20:21], s[20:21], s[22:23]
	v_lshlrev_b64_e32 v[39:40], 4, v[1:2]
	v_mov_b32_e32 v38, v55
	v_and_b32_e32 v0, 0xffff, v0
	v_add_co_u32 v4, vcc_lo, s20, v4
	v_lshlrev_b64_e32 v[12:13], 4, v[12:13]
	s_wait_alu 0xfffd
	v_add_co_ci_u32_e32 v5, vcc_lo, s21, v5, vcc_lo
	v_add_co_u32 v8, vcc_lo, s20, v6
	v_mov_b32_e32 v55, v57
	v_mad_co_u64_u32 v[57:58], null, s17, v44, v[38:39]
	v_mov_b32_e32 v44, v34
	v_lshlrev_b64_e32 v[14:15], 4, v[14:15]
	s_wait_alu 0xfffd
	v_add_co_ci_u32_e32 v9, vcc_lo, s21, v7, vcc_lo
	v_lshlrev_b64_e32 v[16:17], 4, v[16:17]
	v_add_co_u32 v34, vcc_lo, s20, v12
	v_mov_b32_e32 v27, v41
	v_mov_b32_e32 v29, v42
	v_lshlrev_b64_e32 v[41:42], 4, v[43:44]
	s_wait_alu 0xfffd
	v_add_co_ci_u32_e32 v43, vcc_lo, s21, v13, vcc_lo
	v_lshlrev_b64_e32 v[18:19], 4, v[18:19]
	v_add_co_u32 v44, vcc_lo, s20, v14
	v_mov_b32_e32 v31, v45
	s_wait_alu 0xfffd
	v_add_co_ci_u32_e32 v45, vcc_lo, s21, v15, vcc_lo
	v_mul_lo_u32 v1, s18, v76
	v_mov_b32_e32 v33, v46
	v_lshlrev_b64_e32 v[20:21], 4, v[20:21]
	v_add_co_u32 v46, vcc_lo, s20, v16
	s_wait_alu 0xfffd
	v_add_co_ci_u32_e32 v51, vcc_lo, s21, v17, vcc_lo
	v_lshlrev_b64_e32 v[22:23], 4, v[22:23]
	v_add_co_u32 v18, vcc_lo, s20, v18
	s_wait_alu 0xfffd
	v_add_co_ci_u32_e32 v19, vcc_lo, s21, v19, vcc_lo
	v_lshlrev_b64_e32 v[24:25], 4, v[24:25]
	v_add_co_u32 v58, vcc_lo, s20, v20
	v_mov_b32_e32 v53, v37
	v_lshlrev_b64_e32 v[37:38], 4, v[1:2]
	v_mul_lo_u32 v1, s18, v77
	s_wait_alu 0xfffd
	v_add_co_ci_u32_e32 v59, vcc_lo, s21, v21, vcc_lo
	v_lshlrev_b64_e32 v[26:27], 4, v[26:27]
	v_add_co_u32 v60, vcc_lo, s20, v22
	s_wait_alu 0xfffd
	v_add_co_ci_u32_e32 v61, vcc_lo, s21, v23, vcc_lo
	v_lshlrev_b64_e32 v[28:29], 4, v[28:29]
	v_add_co_u32 v62, vcc_lo, s20, v24
	;; [unrolled: 4-line block ×3, first 2 shown]
	v_lshlrev_b64_e32 v[12:13], 4, v[1:2]
	v_mul_lo_u32 v1, s18, v78
	s_wait_alu 0xfffd
	v_add_co_ci_u32_e32 v66, vcc_lo, s21, v27, vcc_lo
	v_lshlrev_b64_e32 v[32:33], 4, v[32:33]
	v_add_co_u32 v67, vcc_lo, s20, v28
	s_wait_alu 0xfffd
	v_add_co_ci_u32_e32 v68, vcc_lo, s21, v29, vcc_lo
	v_add_co_u32 v69, vcc_lo, s20, v30
	s_wait_alu 0xfffd
	v_add_co_ci_u32_e32 v70, vcc_lo, s21, v31, vcc_lo
	v_add_co_u32 v71, vcc_lo, s20, v32
	v_lshlrev_b64_e32 v[20:21], 4, v[1:2]
	v_mul_lo_u32 v1, s18, v79
	s_wait_alu 0xfffd
	v_add_co_ci_u32_e32 v101, vcc_lo, s21, v33, vcc_lo
	v_add_co_u32 v102, vcc_lo, s20, v41
	s_wait_alu 0xfffd
	v_add_co_ci_u32_e32 v103, vcc_lo, s21, v42, vcc_lo
	v_add_co_u32 v14, vcc_lo, v34, v47
	s_wait_alu 0xfffd
	v_add_co_ci_u32_e32 v15, vcc_lo, v43, v48, vcc_lo
	v_lshlrev_b64_e32 v[24:25], 4, v[1:2]
	v_mul_lo_u32 v1, s18, v80
	v_add_co_u32 v16, vcc_lo, v44, v35
	s_wait_alu 0xfffd
	v_add_co_ci_u32_e32 v17, vcc_lo, v45, v36, vcc_lo
	v_add_co_u32 v22, vcc_lo, v46, v49
	s_wait_alu 0xfffd
	v_add_co_ci_u32_e32 v23, vcc_lo, v51, v50, vcc_lo
	v_add_co_u32 v26, vcc_lo, v18, v39
	v_lshlrev_b64_e32 v[30:31], 4, v[1:2]
	v_mul_lo_u32 v1, s18, v81
	s_wait_alu 0xfffd
	v_add_co_ci_u32_e32 v27, vcc_lo, v19, v40, vcc_lo
	v_add_co_u32 v28, vcc_lo, v58, v37
	s_wait_alu 0xfffd
	v_add_co_ci_u32_e32 v29, vcc_lo, v59, v38, vcc_lo
	v_add_co_u32 v32, vcc_lo, v60, v12
	;; [unrolled: 3-line block ×3, first 2 shown]
	v_lshlrev_b64_e32 v[34:35], 4, v[1:2]
	v_mul_lo_u32 v1, s18, v82
	s_wait_alu 0xfffd
	v_add_co_ci_u32_e32 v37, vcc_lo, v63, v21, vcc_lo
	v_add_co_u32 v40, vcc_lo, v65, v24
	s_clause 0x1
	global_load_b128 v[4:7], v[4:5], off
	global_load_b128 v[8:11], v[8:9], off
	s_wait_alu 0xfffd
	v_add_co_ci_u32_e32 v41, vcc_lo, v66, v25, vcc_lo
	v_add_co_u32 v44, vcc_lo, v67, v30
	s_wait_alu 0xfffd
	v_add_co_ci_u32_e32 v45, vcc_lo, v68, v31, vcc_lo
	v_lshlrev_b64_e32 v[30:31], 4, v[1:2]
	v_mul_lo_u32 v1, s18, v83
	v_add_co_u32 v48, vcc_lo, v69, v34
	s_wait_alu 0xfffd
	v_add_co_ci_u32_e32 v49, vcc_lo, v70, v35, vcc_lo
	s_delay_alu instid0(VALU_DEP_4)
	v_add_co_u32 v58, vcc_lo, v71, v30
	s_clause 0x1
	global_load_b128 v[12:15], v[14:15], off
	global_load_b128 v[16:19], v[16:17], off
	v_lshlrev_b64_e32 v[60:61], 4, v[1:2]
	v_mul_lo_u32 v1, s18, v84
	s_clause 0x1
	global_load_b128 v[20:23], v[22:23], off
	global_load_b128 v[24:27], v[26:27], off
	s_wait_alu 0xfffd
	v_add_co_ci_u32_e32 v59, vcc_lo, v101, v31, vcc_lo
	s_clause 0x1
	global_load_b128 v[28:31], v[28:29], off
	global_load_b128 v[32:35], v[32:33], off
	v_mad_co_u64_u32 v[64:65], null, s17, v64, v[55:56]
	v_lshlrev_b64_e32 v[52:53], 4, v[52:53]
	v_lshlrev_b64_e32 v[62:63], 4, v[1:2]
	v_mul_lo_u32 v1, s18, v85
	v_add_co_u32 v60, vcc_lo, v102, v60
	v_mov_b32_e32 v55, v57
	s_wait_alu 0xfffd
	v_add_co_ci_u32_e32 v61, vcc_lo, v103, v61, vcc_lo
	v_add_co_u32 v65, vcc_lo, s20, v52
	v_mov_b32_e32 v57, v64
	s_wait_alu 0xfffd
	v_add_co_ci_u32_e32 v66, vcc_lo, s21, v53, vcc_lo
	v_lshlrev_b64_e32 v[52:53], 4, v[54:55]
	v_lshlrev_b64_e32 v[54:55], 4, v[1:2]
	v_mul_lo_u32 v1, s18, v86
	s_clause 0x3
	global_load_b128 v[36:39], v[36:37], off
	global_load_b128 v[40:43], v[40:41], off
	global_load_b128 v[44:47], v[44:45], off
	global_load_b128 v[48:51], v[48:49], off
	v_add_co_u32 v62, vcc_lo, v65, v62
	v_lshlrev_b64_e32 v[56:57], 4, v[56:57]
	s_wait_alu 0xfffd
	v_add_co_ci_u32_e32 v63, vcc_lo, v66, v63, vcc_lo
	v_add_co_u32 v52, vcc_lo, s20, v52
	s_wait_alu 0xfffd
	v_add_co_ci_u32_e32 v53, vcc_lo, s21, v53, vcc_lo
	v_add_co_u32 v56, vcc_lo, s20, v56
	v_lshlrev_b64_e32 v[1:2], 4, v[1:2]
	s_wait_alu 0xfffd
	v_add_co_ci_u32_e32 v57, vcc_lo, s21, v57, vcc_lo
	v_add_co_u32 v64, vcc_lo, v52, v54
	s_wait_alu 0xfffd
	v_add_co_ci_u32_e32 v65, vcc_lo, v53, v55, vcc_lo
	v_add_co_u32 v1, vcc_lo, v56, v1
	s_wait_alu 0xfffd
	v_add_co_ci_u32_e32 v2, vcc_lo, v57, v2, vcc_lo
	s_clause 0x4
	global_load_b128 v[52:55], v[58:59], off
	global_load_b128 v[56:59], v[60:61], off
	;; [unrolled: 1-line block ×5, first 2 shown]
	v_mul_lo_u16 v1, v255, 7
	v_mad_u16 v2, v255, 7, 0x341
	v_lshl_add_u32 v0, v0, 4, 0
	s_delay_alu instid0(VALU_DEP_3) | instskip(NEXT) | instid1(VALU_DEP_3)
	v_and_b32_e32 v1, 0xffff, v1
	v_and_b32_e32 v2, 0xffff, v2
	s_delay_alu instid0(VALU_DEP_2) | instskip(NEXT) | instid1(VALU_DEP_2)
	v_lshl_add_u32 v1, v1, 4, 0
	v_lshl_add_u32 v2, v2, 4, 0
	s_wait_loadcnt 0x10
	ds_store_b128 v1, v[4:7]
	s_wait_loadcnt 0xf
	ds_store_b128 v2, v[8:11]
	v_mad_u16 v1, v87, 7, v72
	v_mad_u16 v2, v88, 7, v73
	;; [unrolled: 1-line block ×5, first 2 shown]
	v_and_b32_e32 v1, 0xffff, v1
	v_and_b32_e32 v2, 0xffff, v2
	;; [unrolled: 1-line block ×5, first 2 shown]
	v_lshl_add_u32 v1, v1, 4, 0
	v_lshl_add_u32 v2, v2, 4, 0
	;; [unrolled: 1-line block ×5, first 2 shown]
	s_wait_loadcnt 0xe
	ds_store_b128 v1, v[12:15]
	s_wait_loadcnt 0xd
	ds_store_b128 v2, v[16:19]
	;; [unrolled: 2-line block ×5, first 2 shown]
	v_mad_u16 v1, v92, 7, v77
	v_mad_u16 v2, v93, 7, v78
	;; [unrolled: 1-line block ×4, first 2 shown]
	s_delay_alu instid0(VALU_DEP_4) | instskip(NEXT) | instid1(VALU_DEP_4)
	v_and_b32_e32 v1, 0xffff, v1
	v_and_b32_e32 v2, 0xffff, v2
	s_delay_alu instid0(VALU_DEP_4) | instskip(NEXT) | instid1(VALU_DEP_4)
	v_and_b32_e32 v4, 0xffff, v4
	v_and_b32_e32 v5, 0xffff, v5
	s_delay_alu instid0(VALU_DEP_4) | instskip(NEXT) | instid1(VALU_DEP_4)
	v_lshl_add_u32 v1, v1, 4, 0
	v_lshl_add_u32 v2, v2, 4, 0
	s_delay_alu instid0(VALU_DEP_4) | instskip(NEXT) | instid1(VALU_DEP_4)
	v_lshl_add_u32 v4, v4, 4, 0
	v_lshl_add_u32 v5, v5, 4, 0
	s_wait_loadcnt 0x9
	ds_store_b128 v1, v[32:35]
	s_wait_loadcnt 0x8
	ds_store_b128 v2, v[36:39]
	;; [unrolled: 2-line block ×5, first 2 shown]
	v_mad_u16 v0, v96, 7, v82
	v_mad_u16 v1, v97, 7, v83
	;; [unrolled: 1-line block ×5, first 2 shown]
	v_and_b32_e32 v0, 0xffff, v0
	v_and_b32_e32 v1, 0xffff, v1
	v_and_b32_e32 v2, 0xffff, v2
	v_and_b32_e32 v4, 0xffff, v4
	v_and_b32_e32 v5, 0xffff, v5
	v_lshl_add_u32 v0, v0, 4, 0
	v_lshl_add_u32 v1, v1, 4, 0
	;; [unrolled: 1-line block ×5, first 2 shown]
	s_wait_loadcnt 0x4
	ds_store_b128 v0, v[52:55]
	s_wait_loadcnt 0x3
	ds_store_b128 v1, v[56:59]
	;; [unrolled: 2-line block ×5, first 2 shown]
.LBB0_6:
	v_mul_u32_u24_e32 v0, 0x2493, v3
	v_mul_hi_u32 v216, 0x24924925, v255
	s_mov_b32 s50, 0x5d8e7cdc
	s_mov_b32 s54, 0x2a9d6da3
	;; [unrolled: 1-line block ×3, first 2 shown]
	v_lshrrev_b32_e32 v0, 16, v0
	s_mov_b32 s52, 0xeb564b22
	s_mov_b32 s34, 0x923c349f
	;; [unrolled: 1-line block ×4, first 2 shown]
	v_mul_lo_u16 v0, v0, 7
	s_mov_b32 s40, 0xacd6c6b4
	s_mov_b32 s51, 0xbfd71e95
	;; [unrolled: 1-line block ×4, first 2 shown]
	v_sub_nc_u16 v0, v255, v0
	s_mov_b32 s53, 0xbfefdd0d
	s_mov_b32 s35, 0xbfeec746
	;; [unrolled: 1-line block ×4, first 2 shown]
	v_and_b32_e32 v1, 0xffff, v0
	v_mul_u32_u24_e32 v0, 0x70, v216
	s_mov_b32 s41, 0xbfc7851a
	s_mov_b32 s16, 0x370991
	;; [unrolled: 1-line block ×3, first 2 shown]
	scratch_store_b32 off, v1, off offset:8 ; 4-byte Folded Spill
	v_lshlrev_b32_e32 v1, 4, v1
	s_mov_b32 s22, 0x2b2883cd
	s_mov_b32 s24, 0x3259b75e
	;; [unrolled: 1-line block ×4, first 2 shown]
	v_add3_u32 v215, 0, v0, v1
	scratch_store_b32 off, v1, off          ; 4-byte Folded Spill
	global_wb scope:SCOPE_SE
	s_wait_storecnt_dscnt 0x0
	s_barrier_signal -1
	s_barrier_wait -1
	global_inv scope:SCOPE_SE
	ds_load_b128 v[1:4], v215
	ds_load_b128 v[5:8], v215 offset:1904
	ds_load_b128 v[9:12], v215 offset:3808
	;; [unrolled: 1-line block ×3, first 2 shown]
	s_mov_b32 s20, 0x910ea3b9
	s_mov_b32 s18, 0x7faef3
	;; [unrolled: 1-line block ×18, first 2 shown]
	s_wait_dscnt 0x2
	v_add_f64_e32 v[17:18], v[1:2], v[5:6]
	v_add_f64_e32 v[19:20], v[3:4], v[7:8]
	s_mov_b32 s65, 0x3fc7851a
	s_mov_b32 s46, s54
	;; [unrolled: 1-line block ×9, first 2 shown]
	s_wait_dscnt 0x1
	s_delay_alu instid0(VALU_DEP_2) | instskip(NEXT) | instid1(VALU_DEP_2)
	v_add_f64_e32 v[17:18], v[17:18], v[9:10]
	v_add_f64_e32 v[19:20], v[19:20], v[11:12]
	s_wait_dscnt 0x0
	s_delay_alu instid0(VALU_DEP_2) | instskip(NEXT) | instid1(VALU_DEP_2)
	v_add_f64_e32 v[25:26], v[17:18], v[13:14]
	v_add_f64_e32 v[27:28], v[19:20], v[15:16]
	ds_load_b128 v[17:20], v215 offset:7616
	ds_load_b128 v[21:24], v215 offset:9520
	s_wait_dscnt 0x1
	v_add_f64_e32 v[25:26], v[25:26], v[17:18]
	v_add_f64_e32 v[27:28], v[27:28], v[19:20]
	s_wait_dscnt 0x0
	s_delay_alu instid0(VALU_DEP_2) | instskip(NEXT) | instid1(VALU_DEP_2)
	v_add_f64_e32 v[33:34], v[25:26], v[21:22]
	v_add_f64_e32 v[35:36], v[27:28], v[23:24]
	ds_load_b128 v[25:28], v215 offset:11424
	ds_load_b128 v[29:32], v215 offset:13328
	s_wait_dscnt 0x1
	;; [unrolled: 9-line block ×3, first 2 shown]
	v_add_f64_e32 v[93:94], v[35:36], v[39:40]
	v_add_f64_e64 v[95:96], v[35:36], -v[39:40]
	v_add_f64_e32 v[43:44], v[41:42], v[33:34]
	v_add_f64_e32 v[45:46], v[45:46], v[35:36]
	;; [unrolled: 1-line block ×3, first 2 shown]
	v_add_f64_e64 v[33:34], v[33:34], -v[37:38]
	s_wait_alu 0xfffe
	v_mul_f64_e32 v[143:144], s[16:17], v[93:94]
	v_mul_f64_e32 v[141:142], s[48:49], v[95:96]
	;; [unrolled: 1-line block ×7, first 2 shown]
	v_add_f64_e32 v[47:48], v[43:44], v[37:38]
	v_add_f64_e32 v[49:50], v[45:46], v[39:40]
	ds_load_b128 v[37:40], v215 offset:19040
	ds_load_b128 v[43:46], v215 offset:20944
	s_wait_dscnt 0x1
	v_add_f64_e32 v[101:102], v[31:32], v[39:40]
	v_add_f64_e64 v[103:104], v[31:32], -v[39:40]
	s_wait_dscnt 0x0
	v_add_f64_e32 v[105:106], v[27:28], v[45:46]
	v_add_f64_e64 v[107:108], v[27:28], -v[45:46]
	v_add_f64_e32 v[35:36], v[29:30], v[37:38]
	v_add_f64_e64 v[29:30], v[29:30], -v[37:38]
	v_add_f64_e32 v[31:32], v[25:26], v[43:44]
	v_add_f64_e32 v[47:48], v[47:48], v[37:38]
	;; [unrolled: 1-line block ×3, first 2 shown]
	v_add_f64_e64 v[37:38], v[25:26], -v[43:44]
	ds_load_b128 v[25:28], v215 offset:22848
	ds_load_b128 v[49:52], v215 offset:24752
	v_mul_f64_e32 v[135:136], s[22:23], v[101:102]
	s_wait_dscnt 0x1
	v_add_f64_e32 v[119:120], v[23:24], v[27:28]
	v_add_f64_e64 v[129:130], v[23:24], -v[27:28]
	s_wait_dscnt 0x0
	v_add_f64_e32 v[137:138], v[19:20], v[51:52]
	v_add_f64_e64 v[139:140], v[19:20], -v[51:52]
	v_mul_f64_e32 v[127:128], s[58:59], v[107:108]
	v_mul_f64_e32 v[131:132], s[26:27], v[105:106]
	;; [unrolled: 1-line block ×12, first 2 shown]
	v_add_f64_e32 v[47:48], v[47:48], v[43:44]
	v_add_f64_e32 v[45:46], v[39:40], v[45:46]
	;; [unrolled: 1-line block ×3, first 2 shown]
	v_add_f64_e64 v[43:44], v[21:22], -v[25:26]
	v_mul_f64_e32 v[223:224], s[24:25], v[105:106]
	v_mul_f64_e32 v[221:222], s[50:51], v[103:104]
	;; [unrolled: 1-line block ×15, first 2 shown]
	v_add_f64_e32 v[21:22], v[47:48], v[25:26]
	v_add_f64_e32 v[23:24], v[45:46], v[27:28]
	;; [unrolled: 1-line block ×3, first 2 shown]
	v_add_f64_e64 v[47:48], v[17:18], -v[49:50]
	s_delay_alu instid0(VALU_DEP_4) | instskip(NEXT) | instid1(VALU_DEP_4)
	v_add_f64_e32 v[25:26], v[21:22], v[49:50]
	v_add_f64_e32 v[27:28], v[23:24], v[51:52]
	ds_load_b128 v[17:20], v215 offset:26656
	ds_load_b128 v[21:24], v215 offset:28560
	s_wait_dscnt 0x1
	v_add_f64_e32 v[49:50], v[13:14], v[17:18]
	v_add_f64_e32 v[145:146], v[15:16], v[19:20]
	v_add_f64_e64 v[51:52], v[13:14], -v[17:18]
	v_add_f64_e64 v[147:148], v[15:16], -v[19:20]
	s_wait_dscnt 0x0
	v_add_f64_e32 v[53:54], v[9:10], v[21:22]
	v_add_f64_e32 v[149:150], v[11:12], v[23:24]
	v_add_f64_e64 v[55:56], v[9:10], -v[21:22]
	v_add_f64_e64 v[151:152], v[11:12], -v[23:24]
	ds_load_b128 v[9:12], v215 offset:30464
	v_add_f64_e32 v[13:14], v[25:26], v[17:18]
	v_add_f64_e32 v[15:16], v[27:28], v[19:20]
	s_wait_dscnt 0x0
	v_add_f64_e64 v[17:18], v[7:8], -v[11:12]
	v_add_f64_e32 v[19:20], v[5:6], v[9:10]
	v_mul_f64_e32 v[163:164], s[18:19], v[145:146]
	v_mul_f64_e32 v[231:232], s[26:27], v[145:146]
	;; [unrolled: 1-line block ×6, first 2 shown]
	v_add_f64_e32 v[13:14], v[13:14], v[21:22]
	v_add_f64_e32 v[15:16], v[15:16], v[23:24]
	;; [unrolled: 1-line block ×3, first 2 shown]
	v_add_f64_e64 v[23:24], v[5:6], -v[9:10]
	v_mul_f64_e32 v[25:26], s[34:35], v[17:18]
	v_mul_f64_e32 v[27:28], s[36:37], v[17:18]
	;; [unrolled: 1-line block ×3, first 2 shown]
	v_add_f64_e32 v[153:154], v[13:14], v[9:10]
	v_add_f64_e32 v[155:156], v[15:16], v[11:12]
	v_mul_f64_e32 v[9:10], s[50:51], v[17:18]
	v_mul_f64_e32 v[11:12], s[54:55], v[17:18]
	;; [unrolled: 1-line block ×9, first 2 shown]
	v_fma_f64 v[69:70], v[19:20], s[26:27], v[25:26]
	v_fma_f64 v[25:26], v[19:20], s[26:27], -v[25:26]
	v_fma_f64 v[71:72], v[19:20], s[28:29], v[27:28]
	v_fma_f64 v[27:28], v[19:20], s[28:29], -v[27:28]
	;; [unrolled: 2-line block ×3, first 2 shown]
	v_mul_f64_e32 v[57:58], s[30:31], v[21:22]
	v_mul_f64_e32 v[85:86], s[20:21], v[21:22]
	v_fma_f64 v[59:60], v[19:20], s[16:17], v[9:10]
	v_fma_f64 v[9:10], v[19:20], s[16:17], -v[9:10]
	v_fma_f64 v[61:62], v[19:20], s[30:31], v[11:12]
	v_fma_f64 v[11:12], v[19:20], s[30:31], -v[11:12]
	v_fma_f64 v[63:64], v[19:20], s[22:23], v[13:14]
	v_fma_f64 v[13:14], v[19:20], s[22:23], -v[13:14]
	v_fma_f64 v[67:68], v[19:20], s[24:25], v[15:16]
	v_fma_f64 v[15:16], v[19:20], s[24:25], -v[15:16]
	v_fma_f64 v[77:78], v[19:20], s[18:19], v[17:18]
	v_fma_f64 v[17:18], v[19:20], s[18:19], -v[17:18]
	v_mul_f64_e32 v[19:20], s[16:17], v[21:22]
	v_mul_f64_e32 v[21:22], s[18:19], v[21:22]
	v_fma_f64 v[109:110], v[23:24], s[60:61], v[65:66]
	v_fma_f64 v[97:98], v[23:24], s[44:45], v[65:66]
	;; [unrolled: 1-line block ×12, first 2 shown]
	v_add_f64_e32 v[193:194], v[1:2], v[69:70]
	v_add_f64_e32 v[197:198], v[1:2], v[25:26]
	;; [unrolled: 1-line block ×6, first 2 shown]
	v_mul_f64_e32 v[69:70], s[60:61], v[147:148]
	v_mul_f64_e32 v[71:72], s[22:23], v[145:146]
	;; [unrolled: 1-line block ×4, first 2 shown]
	v_add_f64_e32 v[5:6], v[1:2], v[9:10]
	v_add_f64_e32 v[9:10], v[1:2], v[61:62]
	v_add_f64_e32 v[159:160], v[1:2], v[63:64]
	v_mul_f64_e32 v[63:64], s[54:55], v[151:152]
	v_add_f64_e32 v[189:190], v[1:2], v[67:68]
	v_add_f64_e32 v[99:100], v[1:2], v[15:16]
	v_mul_f64_e32 v[67:68], s[30:31], v[149:150]
	v_add_f64_e32 v[65:66], v[1:2], v[17:18]
	v_fma_f64 v[87:88], v[23:24], s[48:49], v[19:20]
	v_fma_f64 v[19:20], v[23:24], s[50:51], v[19:20]
	;; [unrolled: 1-line block ×4, first 2 shown]
	v_add_f64_e32 v[23:24], v[1:2], v[59:60]
	v_add_f64_e32 v[59:60], v[1:2], v[77:78]
	v_add_f64_e32 v[161:162], v[3:4], v[97:98]
	v_add_f64_e32 v[191:192], v[3:4], v[111:112]
	v_add_f64_e32 v[195:196], v[3:4], v[113:114]
	v_add_f64_e32 v[199:200], v[3:4], v[81:82]
	v_add_f64_e32 v[203:204], v[3:4], v[115:116]
	v_add_f64_e32 v[207:208], v[3:4], v[83:84]
	v_add_f64_e32 v[211:212], v[3:4], v[117:118]
	v_add_f64_e32 v[57:58], v[3:4], v[85:86]
	v_mul_f64_e32 v[77:78], s[34:35], v[129:130]
	v_mul_f64_e32 v[81:82], s[36:37], v[107:108]
	;; [unrolled: 1-line block ×8, first 2 shown]
	scratch_store_b64 off, v[5:6], off offset:16 ; 8-byte Folded Spill
	v_add_f64_e32 v[87:88], v[3:4], v[87:88]
	v_add_f64_e32 v[5:6], v[3:4], v[19:20]
	;; [unrolled: 1-line block ×5, first 2 shown]
	v_mul_f64_e32 v[89:90], s[40:41], v[95:96]
	v_mul_f64_e32 v[121:122], s[18:19], v[137:138]
	v_fma_f64 v[21:22], v[49:50], s[26:27], v[229:230]
	scratch_store_b64 off, v[5:6], off offset:24 ; 8-byte Folded Spill
	v_add_f64_e32 v[5:6], v[1:2], v[11:12]
	v_fma_f64 v[11:12], v[49:50], s[22:23], v[69:70]
	scratch_store_b64 off, v[5:6], off offset:40 ; 8-byte Folded Spill
	v_add_f64_e32 v[5:6], v[3:4], v[91:92]
	v_mul_f64_e32 v[91:92], s[18:19], v[93:94]
	scratch_store_b64 off, v[5:6], off offset:32 ; 8-byte Folded Spill
	v_add_f64_e32 v[5:6], v[1:2], v[13:14]
	v_fma_f64 v[1:2], v[53:54], s[30:31], v[63:64]
	v_fma_f64 v[13:14], v[49:50], s[28:29], v[113:114]
	scratch_store_b64 off, v[5:6], off offset:56 ; 8-byte Folded Spill
	v_add_f64_e32 v[5:6], v[3:4], v[109:110]
	v_add_f64_e32 v[1:2], v[1:2], v[23:24]
	v_mul_f64_e32 v[109:110], s[52:53], v[151:152]
	scratch_store_b64 off, v[5:6], off offset:48 ; 8-byte Folded Spill
	v_add_f64_e32 v[5:6], v[3:4], v[79:80]
	v_fma_f64 v[3:4], v[55:56], s[46:47], v[67:68]
	v_add_f64_e32 v[1:2], v[11:12], v[1:2]
	v_fma_f64 v[11:12], v[51:52], s[44:45], v[71:72]
	v_mul_f64_e32 v[79:80], s[26:27], v[119:120]
	scratch_store_b64 off, v[5:6], off offset:64 ; 8-byte Folded Spill
	v_add_f64_e32 v[3:4], v[3:4], v[87:88]
	v_mul_f64_e32 v[87:88], s[20:21], v[101:102]
	s_delay_alu instid0(VALU_DEP_2) | instskip(SKIP_1) | instid1(VALU_DEP_1)
	v_add_f64_e32 v[3:4], v[11:12], v[3:4]
	v_fma_f64 v[11:12], v[45:46], s[24:25], v[73:74]
	v_add_f64_e32 v[1:2], v[11:12], v[1:2]
	v_fma_f64 v[11:12], v[47:48], s[42:43], v[75:76]
	s_delay_alu instid0(VALU_DEP_1) | instskip(SKIP_1) | instid1(VALU_DEP_1)
	v_add_f64_e32 v[3:4], v[11:12], v[3:4]
	v_fma_f64 v[11:12], v[39:40], s[26:27], v[77:78]
	v_add_f64_e32 v[1:2], v[11:12], v[1:2]
	v_fma_f64 v[11:12], v[43:44], s[58:59], v[79:80]
	s_delay_alu instid0(VALU_DEP_1) | instskip(SKIP_1) | instid1(VALU_DEP_1)
	;; [unrolled: 5-line block ×4, first 2 shown]
	v_add_f64_e32 v[3:4], v[11:12], v[3:4]
	v_fma_f64 v[11:12], v[41:42], s[18:19], v[89:90]
	v_add_f64_e32 v[5:6], v[11:12], v[1:2]
	v_fma_f64 v[11:12], v[33:34], s[64:65], v[91:92]
	v_mul_f64_e32 v[0:1], s[18:19], v[119:120]
	s_delay_alu instid0(VALU_DEP_2) | instskip(SKIP_1) | instid1(VALU_DEP_3)
	v_add_f64_e32 v[7:8], v[11:12], v[3:4]
	v_fma_f64 v[11:12], v[53:54], s[24:25], v[109:110]
	v_fma_f64 v[2:3], v[43:44], s[64:65], v[0:1]
	;; [unrolled: 1-line block ×3, first 2 shown]
	s_delay_alu instid0(VALU_DEP_3) | instskip(SKIP_1) | instid1(VALU_DEP_2)
	v_add_f64_e32 v[9:10], v[11:12], v[9:10]
	v_fma_f64 v[11:12], v[55:56], s[42:43], v[111:112]
	v_add_f64_e32 v[9:10], v[13:14], v[9:10]
	s_delay_alu instid0(VALU_DEP_2) | instskip(SKIP_2) | instid1(VALU_DEP_2)
	v_add_f64_e32 v[11:12], v[11:12], v[19:20]
	v_fma_f64 v[13:14], v[51:52], s[56:57], v[115:116]
	v_fma_f64 v[19:20], v[55:56], s[64:65], v[227:228]
	v_add_f64_e32 v[11:12], v[13:14], v[11:12]
	v_fma_f64 v[13:14], v[45:46], s[18:19], v[117:118]
	s_delay_alu instid0(VALU_DEP_3) | instskip(SKIP_1) | instid1(VALU_DEP_3)
	v_add_f64_e32 v[19:20], v[19:20], v[191:192]
	v_mul_f64_e32 v[191:192], s[46:47], v[147:148]
	v_add_f64_e32 v[9:10], v[13:14], v[9:10]
	v_fma_f64 v[13:14], v[47:48], s[64:65], v[121:122]
	s_delay_alu instid0(VALU_DEP_3) | instskip(NEXT) | instid1(VALU_DEP_2)
	v_fma_f64 v[27:28], v[49:50], s[30:31], v[191:192]
	v_add_f64_e32 v[11:12], v[13:14], v[11:12]
	v_fma_f64 v[13:14], v[39:40], s[20:21], v[123:124]
	s_delay_alu instid0(VALU_DEP_1) | instskip(SKIP_1) | instid1(VALU_DEP_1)
	v_add_f64_e32 v[9:10], v[13:14], v[9:10]
	v_fma_f64 v[13:14], v[43:44], s[38:39], v[125:126]
	v_add_f64_e32 v[11:12], v[13:14], v[11:12]
	v_fma_f64 v[13:14], v[31:32], s[26:27], v[127:128]
	s_delay_alu instid0(VALU_DEP_1) | instskip(SKIP_1) | instid1(VALU_DEP_1)
	v_add_f64_e32 v[9:10], v[13:14], v[9:10]
	;; [unrolled: 5-line block ×5, first 2 shown]
	v_mul_f64_e32 v[159:160], s[28:29], v[149:150]
	v_fma_f64 v[15:16], v[55:56], s[56:57], v[159:160]
	s_delay_alu instid0(VALU_DEP_1) | instskip(SKIP_1) | instid1(VALU_DEP_1)
	v_add_f64_e32 v[15:16], v[15:16], v[161:162]
	v_mul_f64_e32 v[161:162], s[64:65], v[147:148]
	v_fma_f64 v[17:18], v[49:50], s[18:19], v[161:162]
	s_delay_alu instid0(VALU_DEP_1) | instskip(SKIP_1) | instid1(VALU_DEP_1)
	v_add_f64_e32 v[13:14], v[17:18], v[13:14]
	v_fma_f64 v[17:18], v[51:52], s[40:41], v[163:164]
	v_add_f64_e32 v[15:16], v[17:18], v[15:16]
	v_fma_f64 v[17:18], v[45:46], s[26:27], v[165:166]
	s_delay_alu instid0(VALU_DEP_1) | instskip(SKIP_1) | instid1(VALU_DEP_1)
	v_add_f64_e32 v[13:14], v[17:18], v[13:14]
	v_fma_f64 v[17:18], v[47:48], s[34:35], v[167:168]
	v_add_f64_e32 v[15:16], v[17:18], v[15:16]
	v_fma_f64 v[17:18], v[39:40], s[30:31], v[169:170]
	s_delay_alu instid0(VALU_DEP_1) | instskip(SKIP_1) | instid1(VALU_DEP_1)
	v_add_f64_e32 v[13:14], v[17:18], v[13:14]
	v_fma_f64 v[17:18], v[43:44], s[54:55], v[171:172]
	v_add_f64_e32 v[15:16], v[17:18], v[15:16]
	v_fma_f64 v[17:18], v[31:32], s[16:17], v[173:174]
	s_delay_alu instid0(VALU_DEP_1) | instskip(SKIP_1) | instid1(VALU_DEP_1)
	v_add_f64_e32 v[13:14], v[17:18], v[13:14]
	v_fma_f64 v[17:18], v[37:38], s[48:49], v[175:176]
	v_add_f64_e32 v[15:16], v[17:18], v[15:16]
	v_fma_f64 v[17:18], v[35:36], s[24:25], v[177:178]
	s_delay_alu instid0(VALU_DEP_1) | instskip(SKIP_1) | instid1(VALU_DEP_1)
	v_add_f64_e32 v[13:14], v[17:18], v[13:14]
	v_fma_f64 v[17:18], v[29:30], s[42:43], v[179:180]
	v_add_f64_e32 v[15:16], v[17:18], v[15:16]
	v_fma_f64 v[17:18], v[41:42], s[20:21], v[181:182]
	s_delay_alu instid0(VALU_DEP_1) | instskip(SKIP_1) | instid1(VALU_DEP_1)
	v_add_f64_e32 v[13:14], v[17:18], v[13:14]
	v_fma_f64 v[17:18], v[33:34], s[62:63], v[183:184]
	v_add_f64_e32 v[15:16], v[17:18], v[15:16]
	v_fma_f64 v[17:18], v[53:54], s[18:19], v[225:226]
	s_delay_alu instid0(VALU_DEP_1) | instskip(SKIP_1) | instid1(VALU_DEP_2)
	v_add_f64_e32 v[17:18], v[17:18], v[189:190]
	v_mul_f64_e32 v[189:190], s[20:21], v[149:150]
	v_add_f64_e32 v[17:18], v[21:22], v[17:18]
	v_fma_f64 v[21:22], v[51:52], s[34:35], v[231:232]
	s_delay_alu instid0(VALU_DEP_3) | instskip(NEXT) | instid1(VALU_DEP_2)
	v_fma_f64 v[25:26], v[55:56], s[38:39], v[189:190]
	v_add_f64_e32 v[19:20], v[21:22], v[19:20]
	v_fma_f64 v[21:22], v[45:46], s[16:17], v[233:234]
	s_delay_alu instid0(VALU_DEP_3) | instskip(SKIP_1) | instid1(VALU_DEP_3)
	v_add_f64_e32 v[25:26], v[25:26], v[195:196]
	v_mul_f64_e32 v[195:196], s[60:61], v[139:140]
	v_add_f64_e32 v[17:18], v[21:22], v[17:18]
	v_fma_f64 v[21:22], v[47:48], s[50:51], v[235:236]
	s_delay_alu instid0(VALU_DEP_1) | instskip(SKIP_1) | instid1(VALU_DEP_1)
	v_add_f64_e32 v[19:20], v[21:22], v[19:20]
	v_fma_f64 v[21:22], v[39:40], s[22:23], v[237:238]
	v_add_f64_e32 v[17:18], v[21:22], v[17:18]
	v_fma_f64 v[21:22], v[43:44], s[44:45], v[239:240]
	s_delay_alu instid0(VALU_DEP_1) | instskip(SKIP_1) | instid1(VALU_DEP_1)
	v_add_f64_e32 v[19:20], v[21:22], v[19:20]
	v_fma_f64 v[21:22], v[31:32], s[20:21], v[241:242]
	v_add_f64_e32 v[17:18], v[21:22], v[17:18]
	v_fma_f64 v[21:22], v[37:38], s[62:63], v[243:244]
	s_delay_alu instid0(VALU_DEP_1) | instskip(SKIP_1) | instid1(VALU_DEP_1)
	v_add_f64_e32 v[19:20], v[21:22], v[19:20]
	v_fma_f64 v[21:22], v[35:36], s[28:29], v[245:246]
	v_add_f64_e32 v[17:18], v[21:22], v[17:18]
	v_fma_f64 v[21:22], v[29:30], s[36:37], v[247:248]
	s_delay_alu instid0(VALU_DEP_1) | instskip(SKIP_1) | instid1(VALU_DEP_1)
	v_add_f64_e32 v[19:20], v[21:22], v[19:20]
	v_fma_f64 v[21:22], v[41:42], s[30:31], v[249:250]
	v_add_f64_e32 v[17:18], v[21:22], v[17:18]
	v_fma_f64 v[21:22], v[33:34], s[54:55], v[251:252]
	s_delay_alu instid0(VALU_DEP_1) | instskip(SKIP_1) | instid1(VALU_DEP_1)
	v_add_f64_e32 v[19:20], v[21:22], v[19:20]
	v_mul_f64_e32 v[21:22], s[62:63], v[151:152]
	v_fma_f64 v[23:24], v[53:54], s[20:21], v[21:22]
	s_delay_alu instid0(VALU_DEP_1) | instskip(SKIP_1) | instid1(VALU_DEP_2)
	v_add_f64_e32 v[23:24], v[23:24], v[193:194]
	v_mul_f64_e32 v[193:194], s[30:31], v[145:146]
	v_add_f64_e32 v[23:24], v[27:28], v[23:24]
	s_delay_alu instid0(VALU_DEP_2) | instskip(NEXT) | instid1(VALU_DEP_1)
	v_fma_f64 v[27:28], v[51:52], s[54:55], v[193:194]
	v_add_f64_e32 v[25:26], v[27:28], v[25:26]
	v_fma_f64 v[27:28], v[45:46], s[22:23], v[195:196]
	s_delay_alu instid0(VALU_DEP_1) | instskip(SKIP_1) | instid1(VALU_DEP_1)
	v_add_f64_e32 v[23:24], v[27:28], v[23:24]
	v_fma_f64 v[27:28], v[47:48], s[44:45], v[253:254]
	v_add_f64_e32 v[25:26], v[27:28], v[25:26]
	v_fma_f64 v[27:28], v[39:40], s[18:19], v[187:188]
	v_fma_f64 v[187:188], v[39:40], s[18:19], -v[187:188]
	s_delay_alu instid0(VALU_DEP_3) | instskip(NEXT) | instid1(VALU_DEP_3)
	v_add_f64_e32 v[2:3], v[2:3], v[25:26]
	v_add_f64_e32 v[23:24], v[27:28], v[23:24]
	v_fma_f64 v[25:26], v[31:32], s[24:25], v[185:186]
	s_delay_alu instid0(VALU_DEP_1) | instskip(SKIP_1) | instid1(VALU_DEP_1)
	v_add_f64_e32 v[23:24], v[25:26], v[23:24]
	v_fma_f64 v[25:26], v[37:38], s[52:53], v[223:224]
	v_add_f64_e32 v[2:3], v[25:26], v[2:3]
	v_fma_f64 v[25:26], v[35:36], s[16:17], v[221:222]
	s_delay_alu instid0(VALU_DEP_1) | instskip(SKIP_1) | instid1(VALU_DEP_1)
	v_add_f64_e32 v[23:24], v[25:26], v[23:24]
	v_fma_f64 v[25:26], v[29:30], s[48:49], v[219:220]
	v_add_f64_e32 v[2:3], v[25:26], v[2:3]
	v_fma_f64 v[25:26], v[41:42], s[28:29], v[217:218]
	s_delay_alu instid0(VALU_DEP_1) | instskip(SKIP_1) | instid1(VALU_DEP_1)
	v_add_f64_e32 v[25:26], v[25:26], v[23:24]
	v_mul_f64_e32 v[23:24], s[28:29], v[93:94]
	v_fma_f64 v[27:28], v[33:34], s[56:57], v[23:24]
	v_fma_f64 v[23:24], v[33:34], s[36:37], v[23:24]
	s_delay_alu instid0(VALU_DEP_2) | instskip(SKIP_3) | instid1(VALU_DEP_3)
	v_add_f64_e32 v[27:28], v[27:28], v[2:3]
	v_fma_f64 v[2:3], v[53:54], s[20:21], -v[21:22]
	v_fma_f64 v[21:22], v[55:56], s[62:63], v[189:190]
	v_fma_f64 v[189:190], v[49:50], s[30:31], -v[191:192]
	v_add_f64_e32 v[2:3], v[2:3], v[197:198]
	s_delay_alu instid0(VALU_DEP_3) | instskip(SKIP_2) | instid1(VALU_DEP_4)
	v_add_f64_e32 v[21:22], v[21:22], v[199:200]
	v_mul_f64_e32 v[197:198], s[38:39], v[139:140]
	v_mul_f64_e32 v[199:200], s[20:21], v[137:138]
	v_add_f64_e32 v[2:3], v[189:190], v[2:3]
	v_fma_f64 v[189:190], v[51:52], s[46:47], v[193:194]
	v_mul_f64_e32 v[193:194], s[50:51], v[147:148]
	s_delay_alu instid0(VALU_DEP_2) | instskip(SKIP_2) | instid1(VALU_DEP_2)
	v_add_f64_e32 v[21:22], v[189:190], v[21:22]
	v_fma_f64 v[189:190], v[45:46], s[22:23], -v[195:196]
	v_mul_f64_e32 v[195:196], s[16:17], v[145:146]
	v_add_f64_e32 v[2:3], v[189:190], v[2:3]
	v_fma_f64 v[189:190], v[47:48], s[60:61], v[253:254]
	v_mul_f64_e32 v[253:254], s[44:45], v[95:96]
	s_delay_alu instid0(VALU_DEP_3) | instskip(NEXT) | instid1(VALU_DEP_3)
	v_add_f64_e32 v[2:3], v[187:188], v[2:3]
	v_add_f64_e32 v[21:22], v[189:190], v[21:22]
	v_fma_f64 v[189:190], v[49:50], s[16:17], v[193:194]
	s_delay_alu instid0(VALU_DEP_2) | instskip(SKIP_2) | instid1(VALU_DEP_2)
	v_add_f64_e32 v[0:1], v[0:1], v[21:22]
	v_fma_f64 v[21:22], v[31:32], s[24:25], -v[185:186]
	v_mul_f64_e32 v[185:186], s[26:27], v[149:150]
	v_add_f64_e32 v[2:3], v[21:22], v[2:3]
	v_fma_f64 v[21:22], v[37:38], s[42:43], v[223:224]
	s_delay_alu instid0(VALU_DEP_3) | instskip(SKIP_2) | instid1(VALU_DEP_4)
	v_fma_f64 v[187:188], v[55:56], s[34:35], v[185:186]
	v_mul_f64_e32 v[223:224], s[18:19], v[101:102]
	v_fma_f64 v[185:186], v[55:56], s[58:59], v[185:186]
	v_add_f64_e32 v[0:1], v[21:22], v[0:1]
	v_fma_f64 v[21:22], v[35:36], s[16:17], -v[221:222]
	v_add_f64_e32 v[187:188], v[187:188], v[203:204]
	v_mul_f64_e32 v[203:204], s[24:25], v[119:120]
	v_mul_f64_e32 v[221:222], s[40:41], v[103:104]
	v_add_f64_e32 v[185:186], v[185:186], v[207:208]
	v_mul_f64_e32 v[207:208], s[28:29], v[137:138]
	v_mul_f64_e32 v[137:138], s[30:31], v[137:138]
	v_add_f64_e32 v[2:3], v[21:22], v[2:3]
	v_fma_f64 v[21:22], v[29:30], s[50:51], v[219:220]
	v_mul_f64_e32 v[219:220], s[30:31], v[105:106]
	s_delay_alu instid0(VALU_DEP_2) | instskip(SKIP_2) | instid1(VALU_DEP_3)
	v_add_f64_e32 v[0:1], v[21:22], v[0:1]
	v_fma_f64 v[21:22], v[41:42], s[28:29], -v[217:218]
	v_mul_f64_e32 v[217:218], s[54:55], v[107:108]
	v_add_f64_e32 v[23:24], v[23:24], v[0:1]
	v_mul_f64_e32 v[0:1], s[58:59], v[151:152]
	s_delay_alu instid0(VALU_DEP_4) | instskip(NEXT) | instid1(VALU_DEP_2)
	v_add_f64_e32 v[21:22], v[21:22], v[2:3]
	v_fma_f64 v[2:3], v[53:54], s[26:27], v[0:1]
	v_fma_f64 v[0:1], v[53:54], s[26:27], -v[0:1]
	s_delay_alu instid0(VALU_DEP_2) | instskip(SKIP_1) | instid1(VALU_DEP_3)
	v_add_f64_e32 v[2:3], v[2:3], v[201:202]
	v_mul_f64_e32 v[201:202], s[42:43], v[129:130]
	v_add_f64_e32 v[0:1], v[0:1], v[205:206]
	v_mul_f64_e32 v[205:206], s[56:57], v[139:140]
	v_mul_f64_e32 v[139:140], s[46:47], v[139:140]
	v_add_f64_e32 v[2:3], v[189:190], v[2:3]
	v_fma_f64 v[189:190], v[51:52], s[48:49], v[195:196]
	s_delay_alu instid0(VALU_DEP_1) | instskip(SKIP_1) | instid1(VALU_DEP_1)
	v_add_f64_e32 v[187:188], v[189:190], v[187:188]
	v_fma_f64 v[189:190], v[45:46], s[20:21], v[197:198]
	v_add_f64_e32 v[2:3], v[189:190], v[2:3]
	v_fma_f64 v[189:190], v[47:48], s[62:63], v[199:200]
	s_delay_alu instid0(VALU_DEP_1) | instskip(SKIP_1) | instid1(VALU_DEP_1)
	v_add_f64_e32 v[187:188], v[189:190], v[187:188]
	v_fma_f64 v[189:190], v[39:40], s[24:25], v[201:202]
	;; [unrolled: 5-line block ×5, first 2 shown]
	v_add_f64_e32 v[189:190], v[189:190], v[2:3]
	v_mul_f64_e32 v[2:3], s[22:23], v[93:94]
	s_delay_alu instid0(VALU_DEP_1) | instskip(SKIP_1) | instid1(VALU_DEP_2)
	v_fma_f64 v[191:192], v[33:34], s[60:61], v[2:3]
	v_fma_f64 v[2:3], v[33:34], s[44:45], v[2:3]
	v_add_f64_e32 v[191:192], v[191:192], v[187:188]
	v_fma_f64 v[187:188], v[49:50], s[16:17], -v[193:194]
	s_delay_alu instid0(VALU_DEP_1) | instskip(SKIP_1) | instid1(VALU_DEP_1)
	v_add_f64_e32 v[0:1], v[187:188], v[0:1]
	v_fma_f64 v[187:188], v[51:52], s[50:51], v[195:196]
	v_add_f64_e32 v[185:186], v[187:188], v[185:186]
	v_fma_f64 v[187:188], v[45:46], s[20:21], -v[197:198]
	s_delay_alu instid0(VALU_DEP_1) | instskip(SKIP_1) | instid1(VALU_DEP_1)
	v_add_f64_e32 v[0:1], v[187:188], v[0:1]
	v_fma_f64 v[187:188], v[47:48], s[38:39], v[199:200]
	v_add_f64_e32 v[185:186], v[187:188], v[185:186]
	v_fma_f64 v[187:188], v[39:40], s[24:25], -v[201:202]
	v_mul_f64_e32 v[201:202], s[52:53], v[147:148]
	s_delay_alu instid0(VALU_DEP_2) | instskip(SKIP_1) | instid1(VALU_DEP_3)
	v_add_f64_e32 v[0:1], v[187:188], v[0:1]
	v_fma_f64 v[187:188], v[43:44], s[42:43], v[203:204]
	v_fma_f64 v[197:198], v[49:50], s[24:25], v[201:202]
	v_mul_f64_e32 v[203:204], s[24:25], v[145:146]
	v_mul_f64_e32 v[145:146], s[20:21], v[145:146]
	s_delay_alu instid0(VALU_DEP_4) | instskip(SKIP_3) | instid1(VALU_DEP_3)
	v_add_f64_e32 v[185:186], v[187:188], v[185:186]
	v_fma_f64 v[187:188], v[31:32], s[30:31], -v[217:218]
	v_mul_f64_e32 v[217:218], s[40:41], v[107:108]
	v_mul_f64_e32 v[107:108], s[44:45], v[107:108]
	v_add_f64_e32 v[0:1], v[187:188], v[0:1]
	v_fma_f64 v[187:188], v[37:38], s[54:55], v[219:220]
	v_mul_f64_e32 v[219:220], s[18:19], v[105:106]
	v_mul_f64_e32 v[105:106], s[22:23], v[105:106]
	s_delay_alu instid0(VALU_DEP_3) | instskip(SKIP_3) | instid1(VALU_DEP_3)
	v_add_f64_e32 v[185:186], v[187:188], v[185:186]
	v_fma_f64 v[187:188], v[35:36], s[18:19], -v[221:222]
	v_mul_f64_e32 v[221:222], s[46:47], v[103:104]
	v_mul_f64_e32 v[103:104], s[34:35], v[103:104]
	v_add_f64_e32 v[0:1], v[187:188], v[0:1]
	v_fma_f64 v[187:188], v[29:30], s[40:41], v[223:224]
	v_mul_f64_e32 v[223:224], s[30:31], v[101:102]
	v_mul_f64_e32 v[101:102], s[26:27], v[101:102]
	s_delay_alu instid0(VALU_DEP_3) | instskip(SKIP_2) | instid1(VALU_DEP_3)
	v_add_f64_e32 v[185:186], v[187:188], v[185:186]
	v_fma_f64 v[187:188], v[41:42], s[22:23], -v[253:254]
	v_mul_f64_e32 v[253:254], s[34:35], v[95:96]
	v_add_f64_e32 v[195:196], v[2:3], v[185:186]
	s_delay_alu instid0(VALU_DEP_3) | instskip(SKIP_2) | instid1(VALU_DEP_2)
	v_add_f64_e32 v[193:194], v[187:188], v[0:1]
	v_mul_f64_e32 v[0:1], s[44:45], v[151:152]
	v_mul_f64_e32 v[185:186], s[22:23], v[149:150]
	v_fma_f64 v[2:3], v[53:54], s[22:23], v[0:1]
	s_delay_alu instid0(VALU_DEP_2) | instskip(SKIP_2) | instid1(VALU_DEP_4)
	v_fma_f64 v[187:188], v[55:56], s[60:61], v[185:186]
	v_fma_f64 v[0:1], v[53:54], s[22:23], -v[0:1]
	v_fma_f64 v[185:186], v[55:56], s[44:45], v[185:186]
	v_add_f64_e32 v[2:3], v[2:3], v[209:210]
	s_delay_alu instid0(VALU_DEP_4) | instskip(NEXT) | instid1(VALU_DEP_4)
	v_add_f64_e32 v[187:188], v[187:188], v[211:212]
	v_add_f64_e32 v[0:1], v[0:1], v[213:214]
	s_delay_alu instid0(VALU_DEP_4)
	v_add_f64_e32 v[57:58], v[185:186], v[57:58]
	v_fma_f64 v[185:186], v[49:50], s[24:25], -v[201:202]
	v_mul_f64_e32 v[209:210], s[50:51], v[129:130]
	v_mul_f64_e32 v[211:212], s[16:17], v[119:120]
	;; [unrolled: 1-line block ×4, first 2 shown]
	v_add_f64_e32 v[2:3], v[197:198], v[2:3]
	v_fma_f64 v[197:198], v[51:52], s[42:43], v[203:204]
	v_add_f64_e32 v[0:1], v[185:186], v[0:1]
	v_fma_f64 v[185:186], v[51:52], s[52:53], v[203:204]
	s_delay_alu instid0(VALU_DEP_3) | instskip(SKIP_1) | instid1(VALU_DEP_3)
	v_add_f64_e32 v[187:188], v[197:198], v[187:188]
	v_fma_f64 v[197:198], v[45:46], s[28:29], v[205:206]
	v_add_f64_e32 v[57:58], v[185:186], v[57:58]
	v_fma_f64 v[185:186], v[45:46], s[28:29], -v[205:206]
	s_delay_alu instid0(VALU_DEP_3) | instskip(SKIP_1) | instid1(VALU_DEP_3)
	v_add_f64_e32 v[2:3], v[197:198], v[2:3]
	v_fma_f64 v[197:198], v[47:48], s[36:37], v[207:208]
	v_add_f64_e32 v[0:1], v[185:186], v[0:1]
	v_fma_f64 v[185:186], v[47:48], s[56:57], v[207:208]
	s_delay_alu instid0(VALU_DEP_3) | instskip(SKIP_1) | instid1(VALU_DEP_3)
	v_add_f64_e32 v[187:188], v[197:198], v[187:188]
	v_fma_f64 v[197:198], v[39:40], s[16:17], v[209:210]
	v_add_f64_e32 v[57:58], v[185:186], v[57:58]
	v_fma_f64 v[185:186], v[39:40], s[16:17], -v[209:210]
	s_delay_alu instid0(VALU_DEP_3) | instskip(SKIP_1) | instid1(VALU_DEP_3)
	;; [unrolled: 10-line block ×5, first 2 shown]
	v_add_f64_e32 v[197:198], v[197:198], v[2:3]
	v_mul_f64_e32 v[2:3], s[26:27], v[93:94]
	v_add_f64_e32 v[201:202], v[185:186], v[0:1]
	v_mul_f64_e32 v[0:1], s[48:49], v[151:152]
	s_delay_alu instid0(VALU_DEP_3) | instskip(SKIP_1) | instid1(VALU_DEP_2)
	v_fma_f64 v[199:200], v[33:34], s[58:59], v[2:3]
	v_fma_f64 v[2:3], v[33:34], s[34:35], v[2:3]
	v_add_f64_e32 v[199:200], v[199:200], v[187:188]
	s_delay_alu instid0(VALU_DEP_2) | instskip(SKIP_4) | instid1(VALU_DEP_4)
	v_add_f64_e32 v[203:204], v[2:3], v[57:58]
	v_fma_f64 v[2:3], v[53:54], s[16:17], v[0:1]
	v_mul_f64_e32 v[57:58], s[16:17], v[149:150]
	v_mul_f64_e32 v[149:150], s[24:25], v[93:94]
	v_fma_f64 v[0:1], v[53:54], s[16:17], -v[0:1]
	v_add_f64_e32 v[2:3], v[2:3], v[59:60]
	s_delay_alu instid0(VALU_DEP_4) | instskip(NEXT) | instid1(VALU_DEP_3)
	v_fma_f64 v[59:60], v[55:56], s[50:51], v[57:58]
	v_add_f64_e32 v[0:1], v[0:1], v[65:66]
	s_delay_alu instid0(VALU_DEP_2) | instskip(SKIP_1) | instid1(VALU_DEP_1)
	v_add_f64_e32 v[59:60], v[59:60], v[61:62]
	v_mul_f64_e32 v[61:62], s[38:39], v[147:148]
	v_fma_f64 v[147:148], v[49:50], s[20:21], v[61:62]
	s_delay_alu instid0(VALU_DEP_1) | instskip(SKIP_1) | instid1(VALU_DEP_1)
	v_add_f64_e32 v[2:3], v[147:148], v[2:3]
	v_fma_f64 v[147:148], v[51:52], s[62:63], v[145:146]
	v_add_f64_e32 v[59:60], v[147:148], v[59:60]
	v_fma_f64 v[147:148], v[45:46], s[30:31], v[139:140]
	s_delay_alu instid0(VALU_DEP_1) | instskip(SKIP_1) | instid1(VALU_DEP_1)
	v_add_f64_e32 v[2:3], v[147:148], v[2:3]
	v_fma_f64 v[147:148], v[47:48], s[54:55], v[137:138]
	v_add_f64_e32 v[59:60], v[147:148], v[59:60]
	;; [unrolled: 5-line block ×5, first 2 shown]
	v_mul_f64_e32 v[147:148], s[42:43], v[95:96]
	s_delay_alu instid0(VALU_DEP_1) | instskip(NEXT) | instid1(VALU_DEP_1)
	v_fma_f64 v[93:94], v[41:42], s[24:25], v[147:148]
	v_add_f64_e32 v[93:94], v[93:94], v[2:3]
	v_fma_f64 v[2:3], v[33:34], s[52:53], v[149:150]
	s_delay_alu instid0(VALU_DEP_1) | instskip(SKIP_3) | instid1(VALU_DEP_3)
	v_add_f64_e32 v[95:96], v[2:3], v[59:60]
	v_fma_f64 v[2:3], v[55:56], s[48:49], v[57:58]
	v_fma_f64 v[57:58], v[49:50], s[20:21], -v[61:62]
	v_fma_f64 v[59:60], v[33:34], s[42:43], v[149:150]
	v_add_f64_e32 v[2:3], v[2:3], v[97:98]
	s_delay_alu instid0(VALU_DEP_3) | instskip(SKIP_1) | instid1(VALU_DEP_1)
	v_add_f64_e32 v[0:1], v[57:58], v[0:1]
	v_fma_f64 v[57:58], v[51:52], s[38:39], v[145:146]
	v_add_f64_e32 v[2:3], v[57:58], v[2:3]
	v_fma_f64 v[57:58], v[45:46], s[30:31], -v[139:140]
	s_delay_alu instid0(VALU_DEP_1) | instskip(SKIP_1) | instid1(VALU_DEP_1)
	v_add_f64_e32 v[0:1], v[57:58], v[0:1]
	v_fma_f64 v[57:58], v[47:48], s[46:47], v[137:138]
	v_add_f64_e32 v[2:3], v[57:58], v[2:3]
	v_fma_f64 v[57:58], v[39:40], s[28:29], -v[129:130]
	s_delay_alu instid0(VALU_DEP_1) | instskip(SKIP_1) | instid1(VALU_DEP_1)
	;; [unrolled: 5-line block ×4, first 2 shown]
	v_add_f64_e32 v[0:1], v[57:58], v[0:1]
	v_fma_f64 v[57:58], v[29:30], s[34:35], v[101:102]
	v_add_f64_e32 v[2:3], v[57:58], v[2:3]
	v_fma_f64 v[57:58], v[41:42], s[24:25], -v[147:148]
	s_delay_alu instid0(VALU_DEP_2) | instskip(NEXT) | instid1(VALU_DEP_2)
	v_add_f64_e32 v[103:104], v[59:60], v[2:3]
	v_add_f64_e32 v[101:102], v[57:58], v[0:1]
	scratch_load_b64 v[57:58], off, off offset:64 th:TH_LOAD_LU ; 8-byte Folded Reload
	v_fma_f64 v[0:1], v[53:54], s[18:19], -v[225:226]
	v_fma_f64 v[2:3], v[55:56], s[40:41], v[227:228]
	v_fma_f64 v[59:60], v[33:34], s[46:47], v[251:252]
	s_delay_alu instid0(VALU_DEP_3) | instskip(SKIP_1) | instid1(VALU_DEP_3)
	v_add_f64_e32 v[0:1], v[0:1], v[99:100]
	s_wait_loadcnt 0x0
	v_add_f64_e32 v[2:3], v[2:3], v[57:58]
	v_fma_f64 v[57:58], v[49:50], s[26:27], -v[229:230]
	s_delay_alu instid0(VALU_DEP_1) | instskip(SKIP_1) | instid1(VALU_DEP_1)
	v_add_f64_e32 v[0:1], v[57:58], v[0:1]
	v_fma_f64 v[57:58], v[51:52], s[58:59], v[231:232]
	v_add_f64_e32 v[2:3], v[57:58], v[2:3]
	v_fma_f64 v[57:58], v[45:46], s[16:17], -v[233:234]
	s_delay_alu instid0(VALU_DEP_1) | instskip(SKIP_1) | instid1(VALU_DEP_1)
	v_add_f64_e32 v[0:1], v[57:58], v[0:1]
	v_fma_f64 v[57:58], v[47:48], s[48:49], v[235:236]
	;; [unrolled: 5-line block ×5, first 2 shown]
	v_add_f64_e32 v[2:3], v[57:58], v[2:3]
	v_fma_f64 v[57:58], v[41:42], s[30:31], -v[249:250]
	s_delay_alu instid0(VALU_DEP_2)
	v_add_f64_e32 v[107:108], v[59:60], v[2:3]
	scratch_load_b64 v[2:3], off, off offset:56 th:TH_LOAD_LU ; 8-byte Folded Reload
	v_add_f64_e32 v[105:106], v[57:58], v[0:1]
	scratch_load_b64 v[57:58], off, off offset:48 th:TH_LOAD_LU ; 8-byte Folded Reload
	v_fma_f64 v[0:1], v[53:54], s[28:29], -v[157:158]
	v_fma_f64 v[59:60], v[33:34], s[38:39], v[183:184]
	s_wait_loadcnt 0x1
	s_delay_alu instid0(VALU_DEP_2) | instskip(SKIP_2) | instid1(VALU_DEP_1)
	v_add_f64_e32 v[0:1], v[0:1], v[2:3]
	v_fma_f64 v[2:3], v[55:56], s[36:37], v[159:160]
	s_wait_loadcnt 0x0
	v_add_f64_e32 v[2:3], v[2:3], v[57:58]
	v_fma_f64 v[57:58], v[49:50], s[18:19], -v[161:162]
	s_delay_alu instid0(VALU_DEP_1) | instskip(SKIP_1) | instid1(VALU_DEP_1)
	v_add_f64_e32 v[0:1], v[57:58], v[0:1]
	v_fma_f64 v[57:58], v[51:52], s[64:65], v[163:164]
	v_add_f64_e32 v[2:3], v[57:58], v[2:3]
	v_fma_f64 v[57:58], v[45:46], s[26:27], -v[165:166]
	s_delay_alu instid0(VALU_DEP_1) | instskip(SKIP_1) | instid1(VALU_DEP_1)
	v_add_f64_e32 v[0:1], v[57:58], v[0:1]
	v_fma_f64 v[57:58], v[47:48], s[58:59], v[167:168]
	;; [unrolled: 5-line block ×5, first 2 shown]
	v_add_f64_e32 v[2:3], v[57:58], v[2:3]
	v_fma_f64 v[57:58], v[41:42], s[20:21], -v[181:182]
	s_delay_alu instid0(VALU_DEP_2)
	v_add_f64_e32 v[99:100], v[59:60], v[2:3]
	scratch_load_b64 v[2:3], off, off offset:40 th:TH_LOAD_LU ; 8-byte Folded Reload
	v_add_f64_e32 v[97:98], v[57:58], v[0:1]
	scratch_load_b64 v[57:58], off, off offset:32 th:TH_LOAD_LU ; 8-byte Folded Reload
	v_fma_f64 v[0:1], v[53:54], s[24:25], -v[109:110]
	v_fma_f64 v[59:60], v[33:34], s[48:49], v[143:144]
	s_wait_loadcnt 0x1
	s_delay_alu instid0(VALU_DEP_2) | instskip(SKIP_2) | instid1(VALU_DEP_1)
	v_add_f64_e32 v[0:1], v[0:1], v[2:3]
	v_fma_f64 v[2:3], v[55:56], s[52:53], v[111:112]
	s_wait_loadcnt 0x0
	v_add_f64_e32 v[2:3], v[2:3], v[57:58]
	v_fma_f64 v[57:58], v[49:50], s[28:29], -v[113:114]
	v_fma_f64 v[49:50], v[49:50], s[22:23], -v[69:70]
	s_delay_alu instid0(VALU_DEP_2) | instskip(SKIP_2) | instid1(VALU_DEP_2)
	v_add_f64_e32 v[0:1], v[57:58], v[0:1]
	v_fma_f64 v[57:58], v[51:52], s[36:37], v[115:116]
	v_fma_f64 v[51:52], v[51:52], s[60:61], v[71:72]
	v_add_f64_e32 v[2:3], v[57:58], v[2:3]
	v_fma_f64 v[57:58], v[45:46], s[18:19], -v[117:118]
	v_fma_f64 v[45:46], v[45:46], s[24:25], -v[73:74]
	s_delay_alu instid0(VALU_DEP_2) | instskip(SKIP_2) | instid1(VALU_DEP_2)
	v_add_f64_e32 v[0:1], v[57:58], v[0:1]
	v_fma_f64 v[57:58], v[47:48], s[40:41], v[121:122]
	v_fma_f64 v[47:48], v[47:48], s[52:53], v[75:76]
	;; [unrolled: 7-line block ×4, first 2 shown]
	v_add_f64_e32 v[2:3], v[57:58], v[2:3]
	v_fma_f64 v[57:58], v[35:36], s[22:23], -v[133:134]
	s_delay_alu instid0(VALU_DEP_1) | instskip(SKIP_2) | instid1(VALU_DEP_2)
	v_add_f64_e32 v[0:1], v[57:58], v[0:1]
	v_fma_f64 v[57:58], v[29:30], s[44:45], v[135:136]
	v_fma_f64 v[29:30], v[29:30], s[38:39], v[87:88]
	v_add_f64_e32 v[2:3], v[57:58], v[2:3]
	v_fma_f64 v[57:58], v[41:42], s[16:17], -v[141:142]
	s_delay_alu instid0(VALU_DEP_2) | instskip(NEXT) | instid1(VALU_DEP_2)
	v_add_f64_e32 v[111:112], v[59:60], v[2:3]
	v_add_f64_e32 v[109:110], v[57:58], v[0:1]
	v_fma_f64 v[0:1], v[53:54], s[30:31], -v[63:64]
	scratch_load_b64 v[53:54], off, off offset:16 th:TH_LOAD_LU ; 8-byte Folded Reload
	v_fma_f64 v[2:3], v[55:56], s[54:55], v[67:68]
	s_wait_loadcnt 0x0
	v_add_f64_e32 v[0:1], v[0:1], v[53:54]
	scratch_load_b64 v[53:54], off, off offset:24 th:TH_LOAD_LU ; 8-byte Folded Reload
	v_add_f64_e32 v[0:1], v[49:50], v[0:1]
	s_delay_alu instid0(VALU_DEP_1) | instskip(NEXT) | instid1(VALU_DEP_1)
	v_add_f64_e32 v[0:1], v[45:46], v[0:1]
	v_add_f64_e32 v[0:1], v[39:40], v[0:1]
	s_delay_alu instid0(VALU_DEP_1)
	v_add_f64_e32 v[0:1], v[31:32], v[0:1]
	v_fma_f64 v[31:32], v[35:36], s[20:21], -v[85:86]
	scratch_load_b32 v86, off, off offset:8 ; 4-byte Folded Reload
	v_add_f64_e32 v[0:1], v[31:32], v[0:1]
	v_fma_f64 v[31:32], v[33:34], s[40:41], v[91:92]
	s_wait_loadcnt 0x1
	v_add_f64_e32 v[2:3], v[2:3], v[53:54]
	s_delay_alu instid0(VALU_DEP_1) | instskip(NEXT) | instid1(VALU_DEP_1)
	v_add_f64_e32 v[2:3], v[51:52], v[2:3]
	v_add_f64_e32 v[2:3], v[47:48], v[2:3]
	s_delay_alu instid0(VALU_DEP_1) | instskip(NEXT) | instid1(VALU_DEP_1)
	v_add_f64_e32 v[2:3], v[43:44], v[2:3]
	v_add_f64_e32 v[2:3], v[37:38], v[2:3]
	s_delay_alu instid0(VALU_DEP_1) | instskip(SKIP_1) | instid1(VALU_DEP_2)
	v_add_f64_e32 v[2:3], v[29:30], v[2:3]
	v_fma_f64 v[29:30], v[41:42], s[18:19], -v[89:90]
	v_add_f64_e32 v[31:32], v[31:32], v[2:3]
	s_delay_alu instid0(VALU_DEP_2)
	v_add_f64_e32 v[29:30], v[29:30], v[0:1]
	scratch_load_b32 v1, off, off th:TH_LOAD_LU ; 4-byte Folded Reload
	v_mul_u32_u24_e32 v0, 0x770, v216
	global_wb scope:SCOPE_SE
	s_wait_loadcnt 0x0
	s_wait_storecnt 0x0
	s_barrier_signal -1
	s_barrier_wait -1
	global_inv scope:SCOPE_SE
	v_add3_u32 v0, 0, v0, v1
	v_add_nc_u32_e32 v1, s10, v86
	ds_store_b128 v0, v[153:156]
	ds_store_b128 v0, v[5:8] offset:112
	ds_store_b128 v0, v[9:12] offset:224
	;; [unrolled: 1-line block ×11, first 2 shown]
	v_cmp_gt_u32_e32 vcc_lo, s12, v1
	ds_store_b128 v0, v[21:24] offset:1344
	ds_store_b128 v0, v[105:108] offset:1456
	;; [unrolled: 1-line block ×5, first 2 shown]
	global_wb scope:SCOPE_SE
	s_wait_dscnt 0x0
	s_barrier_signal -1
	s_or_b32 s3, s3, vcc_lo
	s_barrier_wait -1
	global_inv scope:SCOPE_SE
	s_and_saveexec_b32 s11, s3
	s_cbranch_execz .LBB0_8
; %bb.7:
	v_mul_hi_u32 v0, 0xf0f0f10, v216
	s_clause 0x1
	s_load_b64 s[12:13], s[0:1], 0x0
	s_load_b64 s[0:1], s[0:1], 0x60
	s_mov_b32 s11, s7
	s_mul_i32 s6, s33, s6
	s_mul_u64 s[8:9], s[8:9], s[14:15]
	s_wait_alu 0xfffe
	s_lshl_b64 s[6:7], s[6:7], 4
	v_mul_u32_u24_e32 v0, 17, v0
	s_delay_alu instid0(VALU_DEP_1) | instskip(NEXT) | instid1(VALU_DEP_1)
	v_sub_nc_u32_e32 v5, v216, v0
	v_lshlrev_b32_e32 v1, 8, v5
	s_wait_kmcnt 0x0
	s_clause 0x4
	global_load_b128 v[6:9], v1, s[12:13] offset:112
	global_load_b128 v[10:13], v1, s[12:13] offset:128
	;; [unrolled: 1-line block ×5, first 2 shown]
	ds_load_b128 v[26:29], v215 offset:15232
	ds_load_b128 v[30:33], v215 offset:17136
	s_wait_loadcnt_dscnt 0x401
	v_mul_f64_e32 v[2:3], v[28:29], v[8:9]
	v_mul_f64_e32 v[8:9], v[26:27], v[8:9]
	s_wait_loadcnt_dscnt 0x300
	v_mul_f64_e32 v[34:35], v[32:33], v[12:13]
	v_mul_f64_e32 v[12:13], v[30:31], v[12:13]
	s_delay_alu instid0(VALU_DEP_4) | instskip(NEXT) | instid1(VALU_DEP_4)
	v_fma_f64 v[36:37], v[26:27], v[6:7], v[2:3]
	v_fma_f64 v[38:39], v[28:29], v[6:7], -v[8:9]
	ds_load_b128 v[6:9], v215 offset:13328
	ds_load_b128 v[26:29], v215 offset:11424
	v_fma_f64 v[30:31], v[30:31], v[10:11], v[34:35]
	v_fma_f64 v[32:33], v[32:33], v[10:11], -v[12:13]
	ds_load_b128 v[10:13], v215 offset:19040
	s_wait_loadcnt_dscnt 0x202
	v_mul_f64_e32 v[2:3], v[8:9], v[16:17]
	v_mul_f64_e32 v[16:17], v[6:7], v[16:17]
	v_add_f64_e64 v[164:165], v[36:37], -v[30:31]
	v_add_f64_e64 v[166:167], v[38:39], -v[32:33]
	s_delay_alu instid0(VALU_DEP_4) | instskip(NEXT) | instid1(VALU_DEP_4)
	v_fma_f64 v[34:35], v[6:7], v[14:15], v[2:3]
	v_fma_f64 v[40:41], v[8:9], v[14:15], -v[16:17]
	ds_load_b128 v[6:9], v215 offset:20944
	s_wait_loadcnt_dscnt 0x101
	v_mul_f64_e32 v[14:15], v[10:11], v[20:21]
	v_mul_f64_e32 v[2:3], v[12:13], v[20:21]
	;; [unrolled: 1-line block ×4, first 2 shown]
	s_delay_alu instid0(VALU_DEP_4)
	v_fma_f64 v[44:45], v[12:13], v[18:19], -v[14:15]
	s_wait_loadcnt 0x0
	v_mul_f64_e32 v[14:15], v[26:27], v[24:25]
	v_fma_f64 v[42:43], v[10:11], v[18:19], v[2:3]
	global_load_b128 v[10:13], v1, s[12:13] offset:64
	v_mul_f64_e32 v[2:3], v[28:29], v[24:25]
	v_add_f64_e32 v[24:25], v[40:41], v[44:45]
	v_fma_f64 v[46:47], v[28:29], v[22:23], -v[14:15]
	s_clause 0x1
	global_load_b128 v[14:17], v1, s[12:13] offset:160
	global_load_b128 v[18:21], v1, s[12:13] offset:176
	v_add_f64_e64 v[170:171], v[40:41], -v[44:45]
	v_fma_f64 v[26:27], v[26:27], v[22:23], v[2:3]
	v_add_f64_e64 v[168:169], v[34:35], -v[42:43]
	v_add_f64_e32 v[22:23], v[34:35], v[42:43]
	s_delay_alu instid0(VALU_DEP_2) | instskip(SKIP_2) | instid1(VALU_DEP_1)
	v_mul_f64_e32 v[108:109], s[52:53], v[168:169]
	s_wait_loadcnt_dscnt 0x100
	v_mul_f64_e32 v[2:3], v[8:9], v[16:17]
	v_fma_f64 v[28:29], v[6:7], v[14:15], v[2:3]
	v_mul_f64_e32 v[2:3], v[6:7], v[16:17]
	s_delay_alu instid0(VALU_DEP_2) | instskip(NEXT) | instid1(VALU_DEP_2)
	v_add_f64_e64 v[172:173], v[26:27], -v[28:29]
	v_fma_f64 v[48:49], v[8:9], v[14:15], -v[2:3]
	ds_load_b128 v[6:9], v215 offset:9520
	ds_load_b128 v[14:17], v215 offset:7616
	s_wait_dscnt 0x1
	v_mul_f64_e32 v[2:3], v[8:9], v[12:13]
	v_mul_f64_e32 v[112:113], s[50:51], v[172:173]
	v_add_f64_e64 v[174:175], v[46:47], -v[48:49]
	s_delay_alu instid0(VALU_DEP_3) | instskip(SKIP_1) | instid1(VALU_DEP_3)
	v_fma_f64 v[50:51], v[6:7], v[10:11], v[2:3]
	v_mul_f64_e32 v[2:3], v[6:7], v[12:13]
	v_mul_f64_e32 v[110:111], s[50:51], v[174:175]
	s_delay_alu instid0(VALU_DEP_2) | instskip(SKIP_4) | instid1(VALU_DEP_1)
	v_fma_f64 v[52:53], v[8:9], v[10:11], -v[2:3]
	ds_load_b128 v[6:9], v215 offset:22848
	ds_load_b128 v[10:13], v215 offset:24752
	s_wait_loadcnt_dscnt 0x1
	v_mul_f64_e32 v[2:3], v[8:9], v[20:21]
	v_fma_f64 v[54:55], v[6:7], v[18:19], v[2:3]
	v_mul_f64_e32 v[2:3], v[6:7], v[20:21]
	s_delay_alu instid0(VALU_DEP_2) | instskip(NEXT) | instid1(VALU_DEP_2)
	v_add_f64_e64 v[176:177], v[50:51], -v[54:55]
	v_fma_f64 v[56:57], v[8:9], v[18:19], -v[2:3]
	s_clause 0x1
	global_load_b128 v[6:9], v1, s[12:13] offset:48
	global_load_b128 v[18:21], v1, s[12:13] offset:32
	v_mul_f64_e32 v[116:117], s[46:47], v[176:177]
	v_add_f64_e64 v[178:179], v[52:53], -v[56:57]
	s_delay_alu instid0(VALU_DEP_1) | instskip(SKIP_3) | instid1(VALU_DEP_1)
	v_mul_f64_e32 v[114:115], s[46:47], v[178:179]
	v_mul_f64_e32 v[88:89], s[42:43], v[178:179]
	s_wait_loadcnt 0x1
	v_mul_f64_e32 v[2:3], v[16:17], v[8:9]
	v_fma_f64 v[58:59], v[14:15], v[6:7], v[2:3]
	v_mul_f64_e32 v[2:3], v[14:15], v[8:9]
	s_delay_alu instid0(VALU_DEP_1)
	v_fma_f64 v[60:61], v[16:17], v[6:7], -v[2:3]
	s_clause 0x1
	global_load_b128 v[6:9], v1, s[12:13] offset:192
	global_load_b128 v[14:17], v1, s[12:13] offset:208
	s_wait_loadcnt_dscnt 0x100
	v_mul_f64_e32 v[2:3], v[12:13], v[8:9]
	s_delay_alu instid0(VALU_DEP_1) | instskip(SKIP_1) | instid1(VALU_DEP_2)
	v_fma_f64 v[62:63], v[10:11], v[6:7], v[2:3]
	v_mul_f64_e32 v[2:3], v[10:11], v[8:9]
	v_add_f64_e64 v[180:181], v[58:59], -v[62:63]
	s_delay_alu instid0(VALU_DEP_2)
	v_fma_f64 v[64:65], v[12:13], v[6:7], -v[2:3]
	ds_load_b128 v[6:9], v215 offset:5712
	ds_load_b128 v[10:13], v215 offset:3808
	s_wait_dscnt 0x1
	v_mul_f64_e32 v[2:3], v[8:9], v[20:21]
	v_mul_f64_e32 v[120:121], s[58:59], v[180:181]
	v_add_f64_e64 v[182:183], v[60:61], -v[64:65]
	s_delay_alu instid0(VALU_DEP_3) | instskip(SKIP_1) | instid1(VALU_DEP_3)
	v_fma_f64 v[66:67], v[6:7], v[18:19], v[2:3]
	v_mul_f64_e32 v[2:3], v[6:7], v[20:21]
	v_mul_f64_e32 v[118:119], s[58:59], v[182:183]
	s_delay_alu instid0(VALU_DEP_2) | instskip(SKIP_4) | instid1(VALU_DEP_1)
	v_fma_f64 v[68:69], v[8:9], v[18:19], -v[2:3]
	ds_load_b128 v[6:9], v215 offset:26656
	ds_load_b128 v[18:21], v215 offset:28560
	s_wait_loadcnt_dscnt 0x1
	v_mul_f64_e32 v[2:3], v[8:9], v[16:17]
	v_fma_f64 v[70:71], v[6:7], v[14:15], v[2:3]
	v_mul_f64_e32 v[2:3], v[6:7], v[16:17]
	s_delay_alu instid0(VALU_DEP_2) | instskip(NEXT) | instid1(VALU_DEP_2)
	v_add_f64_e64 v[190:191], v[66:67], -v[70:71]
	v_fma_f64 v[72:73], v[8:9], v[14:15], -v[2:3]
	s_clause 0x1
	global_load_b128 v[6:9], v1, s[12:13] offset:16
	global_load_b128 v[14:17], v1, s[12:13]
	v_mul_f64_e32 v[98:99], s[36:37], v[190:191]
	v_add_f64_e64 v[192:193], v[68:69], -v[72:73]
	v_mul_f64_e32 v[124:125], s[64:65], v[190:191]
	s_delay_alu instid0(VALU_DEP_2) | instskip(SKIP_2) | instid1(VALU_DEP_1)
	v_mul_f64_e32 v[122:123], s[64:65], v[192:193]
	s_wait_loadcnt 0x1
	v_mul_f64_e32 v[2:3], v[12:13], v[8:9]
	v_fma_f64 v[74:75], v[10:11], v[6:7], v[2:3]
	v_mul_f64_e32 v[2:3], v[10:11], v[8:9]
	s_delay_alu instid0(VALU_DEP_1)
	v_fma_f64 v[76:77], v[12:13], v[6:7], -v[2:3]
	s_clause 0x1
	global_load_b128 v[6:9], v1, s[12:13] offset:224
	global_load_b128 v[10:13], v1, s[12:13] offset:240
	s_wait_loadcnt_dscnt 0x100
	v_mul_f64_e32 v[0:1], v[20:21], v[8:9]
	s_delay_alu instid0(VALU_DEP_1) | instskip(SKIP_1) | instid1(VALU_DEP_2)
	v_fma_f64 v[78:79], v[18:19], v[6:7], v[0:1]
	v_mul_f64_e32 v[0:1], v[18:19], v[8:9]
	v_add_f64_e64 v[194:195], v[74:75], -v[78:79]
	s_delay_alu instid0(VALU_DEP_2)
	v_fma_f64 v[80:81], v[20:21], v[6:7], -v[0:1]
	ds_load_b128 v[6:9], v215 offset:1904
	ds_load_b128 v[1:4], v215
	s_wait_dscnt 0x1
	v_mul_f64_e32 v[18:19], v[8:9], v[16:17]
	v_mul_f64_e32 v[96:97], s[52:53], v[194:195]
	v_add_f64_e64 v[196:197], v[76:77], -v[80:81]
	v_mul_f64_e32 v[128:129], s[36:37], v[194:195]
	v_mul_f64_e32 v[208:209], s[62:63], v[194:195]
	;; [unrolled: 1-line block ×3, first 2 shown]
	v_fma_f64 v[82:83], v[6:7], v[14:15], v[18:19]
	v_mul_f64_e32 v[6:7], v[6:7], v[16:17]
	v_add_f64_e32 v[18:19], v[38:39], v[32:33]
	v_mul_f64_e32 v[100:101], s[52:53], v[196:197]
	v_mul_f64_e32 v[126:127], s[36:37], v[196:197]
	;; [unrolled: 1-line block ×4, first 2 shown]
	v_fma_f64 v[14:15], v[8:9], v[14:15], -v[6:7]
	ds_load_b128 v[6:9], v215 offset:30464
	s_wait_loadcnt_dscnt 0x0
	v_mul_f64_e32 v[16:17], v[8:9], v[12:13]
	s_delay_alu instid0(VALU_DEP_1) | instskip(SKIP_2) | instid1(VALU_DEP_1)
	v_fma_f64 v[84:85], v[6:7], v[10:11], v[16:17]
	v_mul_f64_e32 v[6:7], v[6:7], v[12:13]
	v_mad_co_u64_u32 v[12:13], null, s4, v86, 0
	v_mov_b32_e32 v0, v13
	s_delay_alu instid0(VALU_DEP_4) | instskip(NEXT) | instid1(VALU_DEP_4)
	v_add_f64_e64 v[198:199], v[82:83], -v[84:85]
	v_fma_f64 v[10:11], v[8:9], v[10:11], -v[6:7]
	s_delay_alu instid0(VALU_DEP_3)
	v_mad_co_u64_u32 v[6:7], null, s5, v86, v[0:1]
	v_mul_hi_u32 v0, 0x226b903, v255
	v_add_f64_e32 v[8:9], v[1:2], v[82:83]
	s_mul_u64 s[4:5], s[4:5], s[10:11]
	v_add_f64_e32 v[86:87], v[36:37], v[30:31]
	s_wait_alu 0xfffe
	s_lshl_b64 s[4:5], s[4:5], 4
	s_wait_alu 0xfffe
	s_add_nc_u64 s[0:1], s[0:1], s[4:5]
	s_lshl_b64 s[4:5], s[8:9], 4
	v_mad_u32_u24 v0, 0x121, v0, v5
	s_add_nc_u64 s[0:1], s[0:1], s[6:7]
	s_wait_alu 0xfffe
	s_add_nc_u64 s[0:1], s[0:1], s[4:5]
	s_delay_alu instid0(VALU_DEP_1) | instskip(SKIP_2) | instid1(VALU_DEP_2)
	v_mul_lo_u32 v20, v0, s2
	v_mov_b32_e32 v13, v6
	v_add_f64_e32 v[6:7], v[3:4], v[14:15]
	v_lshlrev_b64_e32 v[12:13], 4, v[12:13]
	s_delay_alu instid0(VALU_DEP_1) | instskip(SKIP_3) | instid1(VALU_DEP_3)
	v_add_co_u32 v184, vcc_lo, s0, v12
	s_mul_i32 s0, s2, 17
	v_mov_b32_e32 v21, 0
	s_wait_alu 0xfffd
	v_add_co_ci_u32_e32 v185, vcc_lo, s1, v13, vcc_lo
	s_delay_alu instid0(VALU_DEP_2)
	v_lshlrev_b64_e32 v[12:13], 4, v[20:21]
	v_mul_f64_e32 v[92:93], s[50:51], v[198:199]
	v_add_f64_e64 v[200:201], v[14:15], -v[10:11]
	v_mul_f64_e32 v[130:131], s[54:55], v[198:199]
	s_wait_alu 0xfffe
	v_add_nc_u32_e32 v20, s0, v20
	v_mul_f64_e32 v[162:163], s[60:61], v[198:199]
	v_add_f64_e32 v[8:9], v[8:9], v[74:75]
	v_add_co_u32 v12, vcc_lo, v184, v12
	s_wait_alu 0xfffd
	v_add_co_ci_u32_e32 v13, vcc_lo, v185, v13, vcc_lo
	v_mul_f64_e32 v[202:203], s[52:53], v[198:199]
	v_add_f64_e32 v[6:7], v[6:7], v[76:77]
	v_mul_f64_e32 v[94:95], s[50:51], v[200:201]
	v_mul_f64_e32 v[90:91], s[54:55], v[200:201]
	v_mul_f64_e32 v[160:161], s[60:61], v[200:201]
	v_mul_f64_e32 v[204:205], s[52:53], v[200:201]
	v_add_f64_e32 v[8:9], v[8:9], v[66:67]
	v_mul_f64_e32 v[210:211], s[34:35], v[200:201]
	v_mul_f64_e32 v[242:243], s[36:37], v[200:201]
	v_add_f64_e32 v[6:7], v[6:7], v[68:69]
	s_delay_alu instid0(VALU_DEP_4) | instskip(NEXT) | instid1(VALU_DEP_2)
	v_add_f64_e32 v[8:9], v[8:9], v[58:59]
	v_add_f64_e32 v[6:7], v[6:7], v[60:61]
	s_delay_alu instid0(VALU_DEP_2) | instskip(NEXT) | instid1(VALU_DEP_2)
	v_add_f64_e32 v[8:9], v[8:9], v[50:51]
	v_add_f64_e32 v[6:7], v[6:7], v[52:53]
	s_delay_alu instid0(VALU_DEP_2) | instskip(SKIP_1) | instid1(VALU_DEP_3)
	v_add_f64_e32 v[8:9], v[8:9], v[26:27]
	v_add_f64_e32 v[26:27], v[26:27], v[28:29]
	;; [unrolled: 1-line block ×3, first 2 shown]
	s_delay_alu instid0(VALU_DEP_3) | instskip(SKIP_1) | instid1(VALU_DEP_3)
	v_add_f64_e32 v[8:9], v[8:9], v[34:35]
	v_add_f64_e32 v[34:35], v[58:59], v[62:63]
	;; [unrolled: 1-line block ×3, first 2 shown]
	s_delay_alu instid0(VALU_DEP_3) | instskip(NEXT) | instid1(VALU_DEP_2)
	v_add_f64_e32 v[8:9], v[8:9], v[36:37]
	v_add_f64_e32 v[6:7], v[6:7], v[38:39]
	;; [unrolled: 1-line block ×4, first 2 shown]
	s_delay_alu instid0(VALU_DEP_4)
	v_add_f64_e32 v[8:9], v[8:9], v[30:31]
	v_add_f64_e32 v[30:31], v[50:51], v[54:55]
	;; [unrolled: 1-line block ×5, first 2 shown]
	v_mul_f64_e32 v[52:53], s[50:51], v[176:177]
	v_add_f64_e32 v[8:9], v[8:9], v[42:43]
	v_mul_f64_e32 v[42:43], s[40:41], v[174:175]
	v_add_f64_e32 v[6:7], v[6:7], v[44:45]
	v_add_f64_e32 v[44:45], v[66:67], v[70:71]
	v_mul_f64_e32 v[66:67], s[52:53], v[190:191]
	v_add_f64_e32 v[8:9], v[8:9], v[28:29]
	;; [unrolled: 3-line block ×3, first 2 shown]
	v_mul_f64_e32 v[48:49], s[50:51], v[178:179]
	v_add_f64_e32 v[8:9], v[8:9], v[54:55]
	v_mul_f64_e32 v[54:55], s[56:57], v[182:183]
	s_delay_alu instid0(VALU_DEP_4) | instskip(SKIP_1) | instid1(VALU_DEP_4)
	v_add_f64_e32 v[6:7], v[6:7], v[56:57]
	v_add_f64_e32 v[56:57], v[74:75], v[78:79]
	;; [unrolled: 1-line block ×3, first 2 shown]
	v_mul_f64_e32 v[62:63], s[56:57], v[180:181]
	s_delay_alu instid0(VALU_DEP_4) | instskip(NEXT) | instid1(VALU_DEP_4)
	v_add_f64_e32 v[6:7], v[6:7], v[64:65]
	v_fma_f64 v[214:215], v[56:57], s[20:21], v[212:213]
	v_fma_f64 v[246:247], v[56:57], s[26:27], v[244:245]
	v_mul_f64_e32 v[64:65], s[52:53], v[192:193]
	v_add_f64_e32 v[8:9], v[8:9], v[70:71]
	v_mul_f64_e32 v[70:71], s[44:45], v[196:197]
	v_add_f64_e32 v[6:7], v[6:7], v[72:73]
	v_mul_f64_e32 v[72:73], s[44:45], v[194:195]
	s_delay_alu instid0(VALU_DEP_4) | instskip(SKIP_4) | instid1(VALU_DEP_2)
	v_add_f64_e32 v[16:17], v[8:9], v[78:79]
	v_fma_f64 v[78:79], v[56:57], s[24:25], v[100:101]
	v_fma_f64 v[68:69], v[56:57], s[22:23], v[70:71]
	v_add_f64_e32 v[6:7], v[6:7], v[80:81]
	v_mul_f64_e32 v[80:81], s[40:41], v[168:169]
	v_add_f64_e32 v[8:9], v[6:7], v[10:11]
	v_add_f64_e32 v[6:7], v[16:17], v[84:85]
	;; [unrolled: 1-line block ×3, first 2 shown]
	v_mul_f64_e32 v[84:85], s[54:55], v[172:173]
	v_mul_f64_e32 v[82:83], s[54:55], v[174:175]
	global_store_b128 v[12:13], v[6:9], off
	v_add_f64_e32 v[7:8], v[14:15], v[10:11]
	v_mul_f64_e32 v[5:6], s[54:55], v[194:195]
	v_fma_f64 v[36:37], v[16:17], s[16:17], v[94:95]
	v_mul_f64_e32 v[11:12], s[34:35], v[166:167]
	s_delay_alu instid0(VALU_DEP_4)
	v_fma_f64 v[9:10], v[7:8], s[16:17], -v[92:93]
	scratch_store_b64 off, v[5:6], off offset:88 ; 8-byte Folded Spill
	v_fma_f64 v[13:14], v[60:61], s[30:31], -v[5:6]
	v_mul_f64_e32 v[5:6], s[54:55], v[196:197]
	v_add_f64_e32 v[36:37], v[1:2], v[36:37]
	v_add_f64_e32 v[9:10], v[3:4], v[9:10]
	scratch_store_b64 off, v[5:6], off offset:104 ; 8-byte Folded Spill
	v_fma_f64 v[40:41], v[56:57], s[30:31], v[5:6]
	v_mul_f64_e32 v[5:6], s[60:61], v[190:191]
	v_add_f64_e32 v[13:14], v[13:14], v[9:10]
	v_mul_f64_e32 v[9:10], s[38:39], v[200:201]
	s_delay_alu instid0(VALU_DEP_4) | instskip(SKIP_3) | instid1(VALU_DEP_2)
	v_add_f64_e32 v[36:37], v[40:41], v[36:37]
	scratch_store_b64 off, v[5:6], off offset:96 ; 8-byte Folded Spill
	v_fma_f64 v[40:41], v[50:51], s[22:23], -v[5:6]
	v_mul_f64_e32 v[5:6], s[60:61], v[192:193]
	v_add_f64_e32 v[13:14], v[40:41], v[13:14]
	scratch_store_b64 off, v[5:6], off offset:80 ; 8-byte Folded Spill
	v_fma_f64 v[40:41], v[44:45], s[22:23], v[5:6]
	v_mul_f64_e32 v[5:6], s[52:53], v[180:181]
	s_delay_alu instid0(VALU_DEP_2) | instskip(SKIP_3) | instid1(VALU_DEP_2)
	v_add_f64_e32 v[36:37], v[40:41], v[36:37]
	scratch_store_b64 off, v[5:6], off offset:72 ; 8-byte Folded Spill
	v_fma_f64 v[40:41], v[38:39], s[24:25], -v[5:6]
	v_mul_f64_e32 v[5:6], s[52:53], v[182:183]
	v_add_f64_e32 v[13:14], v[40:41], v[13:14]
	scratch_store_b64 off, v[5:6], off offset:64 ; 8-byte Folded Spill
	v_fma_f64 v[40:41], v[34:35], s[24:25], v[5:6]
	v_mul_f64_e32 v[5:6], s[34:35], v[176:177]
	s_delay_alu instid0(VALU_DEP_2) | instskip(SKIP_3) | instid1(VALU_DEP_2)
	;; [unrolled: 9-line block ×4, first 2 shown]
	v_add_f64_e32 v[36:37], v[40:41], v[36:37]
	scratch_store_b64 off, v[5:6], off offset:24 ; 8-byte Folded Spill
	v_fma_f64 v[40:41], v[24:25], s[20:21], -v[5:6]
	v_mul_f64_e32 v[5:6], s[38:39], v[170:171]
	v_add_f64_e32 v[13:14], v[40:41], v[13:14]
	scratch_store_b64 off, v[5:6], off offset:16 ; 8-byte Folded Spill
	v_fma_f64 v[40:41], v[22:23], s[20:21], v[5:6]
	v_mul_f64_e32 v[5:6], s[40:41], v[164:165]
	s_delay_alu instid0(VALU_DEP_2) | instskip(SKIP_4) | instid1(VALU_DEP_3)
	v_add_f64_e32 v[74:75], v[40:41], v[36:37]
	scratch_store_b64 off, v[5:6], off offset:8 ; 8-byte Folded Spill
	v_fma_f64 v[36:37], v[18:19], s[18:19], -v[5:6]
	v_mul_f64_e32 v[5:6], s[40:41], v[166:167]
	v_mul_f64_e32 v[40:41], s[46:47], v[168:169]
	v_add_f64_e32 v[76:77], v[36:37], v[13:14]
	s_delay_alu instid0(VALU_DEP_3)
	v_fma_f64 v[13:14], v[86:87], s[18:19], v[5:6]
	scratch_store_b64 off, v[5:6], off      ; 8-byte Folded Spill
	v_mul_f64_e32 v[5:6], s[36:37], v[192:193]
	v_add_f64_e32 v[74:75], v[13:14], v[74:75]
	v_lshlrev_b64_e32 v[13:14], 4, v[20:21]
	v_add_nc_u32_e32 v20, s0, v20
	scratch_store_b64 off, v[5:6], off offset:192 ; 8-byte Folded Spill
	v_add_co_u32 v13, vcc_lo, v184, v13
	s_wait_alu 0xfffd
	v_add_co_ci_u32_e32 v14, vcc_lo, v185, v14, vcc_lo
	global_store_b128 v[13:14], v[74:77], off
	v_fma_f64 v[13:14], v[7:8], s[30:31], -v[130:131]
	v_fma_f64 v[76:77], v[16:17], s[30:31], v[90:91]
	v_fma_f64 v[74:75], v[60:61], s[24:25], -v[96:97]
	v_fma_f64 v[130:131], v[7:8], s[30:31], v[130:131]
	v_fma_f64 v[90:91], v[16:17], s[30:31], -v[90:91]
	v_add_f64_e32 v[13:14], v[3:4], v[13:14]
	v_add_f64_e32 v[76:77], v[1:2], v[76:77]
	s_delay_alu instid0(VALU_DEP_4) | instskip(NEXT) | instid1(VALU_DEP_4)
	v_add_f64_e32 v[130:131], v[3:4], v[130:131]
	v_add_f64_e32 v[90:91], v[1:2], v[90:91]
	s_delay_alu instid0(VALU_DEP_4) | instskip(NEXT) | instid1(VALU_DEP_4)
	v_add_f64_e32 v[74:75], v[74:75], v[13:14]
	v_add_f64_e32 v[76:77], v[78:79], v[76:77]
	v_fma_f64 v[78:79], v[50:51], s[28:29], -v[98:99]
	v_mul_f64_e32 v[13:14], s[34:35], v[164:165]
	s_delay_alu instid0(VALU_DEP_2) | instskip(SKIP_2) | instid1(VALU_DEP_2)
	v_add_f64_e32 v[74:75], v[78:79], v[74:75]
	v_fma_f64 v[78:79], v[44:45], s[28:29], v[5:6]
	v_mul_f64_e32 v[5:6], s[40:41], v[180:181]
	v_add_f64_e32 v[76:77], v[78:79], v[76:77]
	scratch_store_b64 off, v[5:6], off offset:184 ; 8-byte Folded Spill
	v_fma_f64 v[78:79], v[38:39], s[18:19], -v[5:6]
	v_mul_f64_e32 v[5:6], s[40:41], v[182:183]
	s_delay_alu instid0(VALU_DEP_2) | instskip(SKIP_3) | instid1(VALU_DEP_2)
	v_add_f64_e32 v[74:75], v[78:79], v[74:75]
	scratch_store_b64 off, v[5:6], off offset:176 ; 8-byte Folded Spill
	v_fma_f64 v[78:79], v[34:35], s[18:19], v[5:6]
	v_mul_f64_e32 v[5:6], s[62:63], v[176:177]
	v_add_f64_e32 v[76:77], v[78:79], v[76:77]
	scratch_store_b64 off, v[5:6], off offset:168 ; 8-byte Folded Spill
	v_fma_f64 v[78:79], v[32:33], s[20:21], -v[5:6]
	v_mul_f64_e32 v[5:6], s[62:63], v[178:179]
	s_delay_alu instid0(VALU_DEP_2) | instskip(SKIP_3) | instid1(VALU_DEP_2)
	v_add_f64_e32 v[74:75], v[78:79], v[74:75]
	scratch_store_b64 off, v[5:6], off offset:160 ; 8-byte Folded Spill
	;; [unrolled: 9-line block ×3, first 2 shown]
	v_fma_f64 v[78:79], v[26:27], s[26:27], v[5:6]
	v_mul_f64_e32 v[5:6], s[44:45], v[168:169]
	v_add_f64_e32 v[76:77], v[78:79], v[76:77]
	scratch_store_b64 off, v[5:6], off offset:136 ; 8-byte Folded Spill
	v_fma_f64 v[78:79], v[24:25], s[22:23], -v[5:6]
	v_mul_f64_e32 v[5:6], s[44:45], v[170:171]
	s_delay_alu instid0(VALU_DEP_2) | instskip(SKIP_4) | instid1(VALU_DEP_3)
	v_add_f64_e32 v[74:75], v[78:79], v[74:75]
	scratch_store_b64 off, v[5:6], off offset:128 ; 8-byte Folded Spill
	v_fma_f64 v[102:103], v[22:23], s[22:23], v[5:6]
	v_mul_f64_e32 v[5:6], s[48:49], v[164:165]
	v_mul_f64_e32 v[78:79], s[40:41], v[170:171]
	v_add_f64_e32 v[102:103], v[102:103], v[76:77]
	scratch_store_b64 off, v[5:6], off offset:120 ; 8-byte Folded Spill
	v_fma_f64 v[104:105], v[18:19], s[16:17], -v[5:6]
	v_mul_f64_e32 v[5:6], s[48:49], v[166:167]
	v_mul_f64_e32 v[76:77], s[44:45], v[164:165]
	s_delay_alu instid0(VALU_DEP_3) | instskip(NEXT) | instid1(VALU_DEP_3)
	v_add_f64_e32 v[104:105], v[104:105], v[74:75]
	v_fma_f64 v[106:107], v[86:87], s[16:17], v[5:6]
	v_mul_f64_e32 v[74:75], s[44:45], v[166:167]
	scratch_store_b64 off, v[5:6], off offset:112 ; 8-byte Folded Spill
	v_mul_f64_e32 v[5:6], s[42:43], v[166:167]
	v_add_f64_e32 v[102:103], v[106:107], v[102:103]
	v_lshlrev_b64_e32 v[106:107], 4, v[20:21]
	v_add_nc_u32_e32 v20, s0, v20
	v_fma_f64 v[58:59], v[86:87], s[22:23], v[74:75]
	s_delay_alu instid0(VALU_DEP_3) | instskip(SKIP_1) | instid1(VALU_DEP_4)
	v_add_co_u32 v106, vcc_lo, v184, v106
	s_wait_alu 0xfffd
	v_add_co_ci_u32_e32 v107, vcc_lo, v185, v107, vcc_lo
	global_store_b128 v[106:107], v[102:105], off
	v_fma_f64 v[102:103], v[7:8], s[22:23], -v[162:163]
	v_fma_f64 v[104:105], v[60:61], s[28:29], -v[128:129]
	v_fma_f64 v[106:107], v[56:57], s[28:29], v[126:127]
	v_fma_f64 v[162:163], v[7:8], s[22:23], v[162:163]
	s_delay_alu instid0(VALU_DEP_4) | instskip(NEXT) | instid1(VALU_DEP_2)
	v_add_f64_e32 v[102:103], v[3:4], v[102:103]
	v_add_f64_e32 v[162:163], v[3:4], v[162:163]
	s_delay_alu instid0(VALU_DEP_2) | instskip(SKIP_2) | instid1(VALU_DEP_2)
	v_add_f64_e32 v[102:103], v[104:105], v[102:103]
	v_fma_f64 v[104:105], v[16:17], s[22:23], v[160:161]
	v_fma_f64 v[160:161], v[16:17], s[22:23], -v[160:161]
	v_add_f64_e32 v[104:105], v[1:2], v[104:105]
	s_delay_alu instid0(VALU_DEP_2) | instskip(NEXT) | instid1(VALU_DEP_2)
	v_add_f64_e32 v[160:161], v[1:2], v[160:161]
	v_add_f64_e32 v[104:105], v[106:107], v[104:105]
	v_fma_f64 v[106:107], v[50:51], s[18:19], -v[124:125]
	s_delay_alu instid0(VALU_DEP_1) | instskip(SKIP_1) | instid1(VALU_DEP_1)
	v_add_f64_e32 v[102:103], v[106:107], v[102:103]
	v_fma_f64 v[106:107], v[44:45], s[18:19], v[122:123]
	v_add_f64_e32 v[104:105], v[106:107], v[104:105]
	v_fma_f64 v[106:107], v[38:39], s[26:27], -v[120:121]
	s_delay_alu instid0(VALU_DEP_1) | instskip(SKIP_1) | instid1(VALU_DEP_1)
	v_add_f64_e32 v[102:103], v[106:107], v[102:103]
	v_fma_f64 v[106:107], v[34:35], s[26:27], v[118:119]
	;; [unrolled: 5-line block ×4, first 2 shown]
	v_add_f64_e32 v[104:105], v[106:107], v[104:105]
	v_fma_f64 v[106:107], v[24:25], s[24:25], -v[108:109]
	s_delay_alu instid0(VALU_DEP_1) | instskip(SKIP_1) | instid1(VALU_DEP_1)
	v_add_f64_e32 v[102:103], v[106:107], v[102:103]
	v_mul_f64_e32 v[106:107], s[52:53], v[170:171]
	v_fma_f64 v[132:133], v[22:23], s[24:25], v[106:107]
	s_delay_alu instid0(VALU_DEP_1) | instskip(SKIP_1) | instid1(VALU_DEP_1)
	v_add_f64_e32 v[132:133], v[132:133], v[104:105]
	v_mul_f64_e32 v[104:105], s[38:39], v[164:165]
	v_fma_f64 v[134:135], v[18:19], s[20:21], -v[104:105]
	s_delay_alu instid0(VALU_DEP_1) | instskip(SKIP_1) | instid1(VALU_DEP_1)
	v_add_f64_e32 v[134:135], v[134:135], v[102:103]
	v_mul_f64_e32 v[102:103], s[38:39], v[166:167]
	v_fma_f64 v[136:137], v[86:87], s[20:21], v[102:103]
	s_delay_alu instid0(VALU_DEP_1) | instskip(SKIP_2) | instid1(VALU_DEP_2)
	v_add_f64_e32 v[132:133], v[136:137], v[132:133]
	v_lshlrev_b64_e32 v[136:137], 4, v[20:21]
	v_add_nc_u32_e32 v20, s0, v20
	v_add_co_u32 v136, vcc_lo, v184, v136
	s_wait_alu 0xfffd
	s_delay_alu instid0(VALU_DEP_3) | instskip(SKIP_2) | instid1(VALU_DEP_1)
	v_add_co_ci_u32_e32 v137, vcc_lo, v185, v137, vcc_lo
	global_store_b128 v[136:137], v[132:135], off
	v_fma_f64 v[132:133], v[7:8], s[24:25], -v[202:203]
	v_add_f64_e32 v[134:135], v[3:4], v[132:133]
	v_mul_f64_e32 v[132:133], s[40:41], v[194:195]
	s_delay_alu instid0(VALU_DEP_1) | instskip(NEXT) | instid1(VALU_DEP_1)
	v_fma_f64 v[136:137], v[60:61], s[18:19], -v[132:133]
	v_add_f64_e32 v[138:139], v[136:137], v[134:135]
	v_fma_f64 v[134:135], v[16:17], s[24:25], v[204:205]
	s_delay_alu instid0(VALU_DEP_1) | instskip(SKIP_2) | instid1(VALU_DEP_2)
	v_add_f64_e32 v[136:137], v[1:2], v[134:135]
	v_mul_f64_e32 v[134:135], s[40:41], v[196:197]
	v_mul_f64_e32 v[196:197], s[48:49], v[196:197]
	v_fma_f64 v[140:141], v[56:57], s[18:19], v[134:135]
	s_delay_alu instid0(VALU_DEP_1) | instskip(SKIP_1) | instid1(VALU_DEP_1)
	v_add_f64_e32 v[140:141], v[140:141], v[136:137]
	v_mul_f64_e32 v[136:137], s[58:59], v[190:191]
	v_fma_f64 v[142:143], v[50:51], s[26:27], -v[136:137]
	s_delay_alu instid0(VALU_DEP_1) | instskip(SKIP_1) | instid1(VALU_DEP_1)
	v_add_f64_e32 v[142:143], v[142:143], v[138:139]
	v_mul_f64_e32 v[138:139], s[58:59], v[192:193]
	v_fma_f64 v[144:145], v[44:45], s[26:27], v[138:139]
	s_delay_alu instid0(VALU_DEP_1) | instskip(SKIP_1) | instid1(VALU_DEP_1)
	v_add_f64_e32 v[144:145], v[144:145], v[140:141]
	v_mul_f64_e32 v[140:141], s[48:49], v[180:181]
	v_fma_f64 v[146:147], v[38:39], s[16:17], -v[140:141]
	s_delay_alu instid0(VALU_DEP_1) | instskip(SKIP_1) | instid1(VALU_DEP_1)
	v_add_f64_e32 v[146:147], v[146:147], v[142:143]
	;; [unrolled: 8-line block ×6, first 2 shown]
	v_mul_f64_e32 v[158:159], s[46:47], v[166:167]
	v_fma_f64 v[206:207], v[86:87], s[30:31], v[158:159]
	s_delay_alu instid0(VALU_DEP_1) | instskip(SKIP_2) | instid1(VALU_DEP_2)
	v_add_f64_e32 v[186:187], v[206:207], v[186:187]
	v_lshlrev_b64_e32 v[206:207], 4, v[20:21]
	v_add_nc_u32_e32 v20, s0, v20
	v_add_co_u32 v206, vcc_lo, v184, v206
	s_wait_alu 0xfffd
	s_delay_alu instid0(VALU_DEP_3) | instskip(SKIP_3) | instid1(VALU_DEP_2)
	v_add_co_ci_u32_e32 v207, vcc_lo, v185, v207, vcc_lo
	global_store_b128 v[206:207], v[186:189], off
	v_mul_f64_e32 v[206:207], s[34:35], v[198:199]
	v_fma_f64 v[188:189], v[60:61], s[20:21], -v[208:209]
	v_fma_f64 v[186:187], v[7:8], s[26:27], -v[206:207]
	s_delay_alu instid0(VALU_DEP_1) | instskip(NEXT) | instid1(VALU_DEP_1)
	v_add_f64_e32 v[186:187], v[3:4], v[186:187]
	v_add_f64_e32 v[186:187], v[188:189], v[186:187]
	v_fma_f64 v[188:189], v[16:17], s[26:27], v[210:211]
	s_delay_alu instid0(VALU_DEP_1) | instskip(NEXT) | instid1(VALU_DEP_1)
	v_add_f64_e32 v[188:189], v[1:2], v[188:189]
	v_add_f64_e32 v[188:189], v[214:215], v[188:189]
	v_mul_f64_e32 v[214:215], s[46:47], v[190:191]
	s_delay_alu instid0(VALU_DEP_1) | instskip(NEXT) | instid1(VALU_DEP_1)
	v_fma_f64 v[216:217], v[50:51], s[30:31], -v[214:215]
	v_add_f64_e32 v[186:187], v[216:217], v[186:187]
	v_mul_f64_e32 v[216:217], s[46:47], v[192:193]
	s_delay_alu instid0(VALU_DEP_1) | instskip(NEXT) | instid1(VALU_DEP_1)
	v_fma_f64 v[218:219], v[44:45], s[30:31], v[216:217]
	v_add_f64_e32 v[188:189], v[218:219], v[188:189]
	v_mul_f64_e32 v[218:219], s[60:61], v[180:181]
	s_delay_alu instid0(VALU_DEP_1) | instskip(NEXT) | instid1(VALU_DEP_1)
	v_fma_f64 v[220:221], v[38:39], s[22:23], -v[218:219]
	v_add_f64_e32 v[186:187], v[220:221], v[186:187]
	v_mul_f64_e32 v[220:221], s[60:61], v[182:183]
	s_delay_alu instid0(VALU_DEP_1) | instskip(NEXT) | instid1(VALU_DEP_1)
	v_fma_f64 v[222:223], v[34:35], s[22:23], v[220:221]
	v_add_f64_e32 v[188:189], v[222:223], v[188:189]
	v_mul_f64_e32 v[222:223], s[40:41], v[176:177]
	s_delay_alu instid0(VALU_DEP_1) | instskip(NEXT) | instid1(VALU_DEP_1)
	v_fma_f64 v[224:225], v[32:33], s[18:19], -v[222:223]
	v_add_f64_e32 v[186:187], v[224:225], v[186:187]
	v_mul_f64_e32 v[224:225], s[40:41], v[178:179]
	v_mul_f64_e32 v[178:179], s[36:37], v[178:179]
	s_delay_alu instid0(VALU_DEP_2) | instskip(NEXT) | instid1(VALU_DEP_1)
	v_fma_f64 v[226:227], v[30:31], s[18:19], v[224:225]
	v_add_f64_e32 v[188:189], v[226:227], v[188:189]
	v_mul_f64_e32 v[226:227], s[42:43], v[172:173]
	v_mul_f64_e32 v[172:173], s[44:45], v[172:173]
	s_delay_alu instid0(VALU_DEP_2) | instskip(NEXT) | instid1(VALU_DEP_1)
	v_fma_f64 v[228:229], v[28:29], s[24:25], -v[226:227]
	v_add_f64_e32 v[186:187], v[228:229], v[186:187]
	v_mul_f64_e32 v[228:229], s[42:43], v[174:175]
	v_mul_f64_e32 v[174:175], s[44:45], v[174:175]
	s_delay_alu instid0(VALU_DEP_2) | instskip(NEXT) | instid1(VALU_DEP_1)
	v_fma_f64 v[230:231], v[26:27], s[24:25], v[228:229]
	v_add_f64_e32 v[188:189], v[230:231], v[188:189]
	v_mul_f64_e32 v[230:231], s[50:51], v[168:169]
	v_mul_f64_e32 v[168:169], s[34:35], v[168:169]
	s_delay_alu instid0(VALU_DEP_2) | instskip(NEXT) | instid1(VALU_DEP_1)
	v_fma_f64 v[232:233], v[24:25], s[16:17], -v[230:231]
	v_add_f64_e32 v[186:187], v[232:233], v[186:187]
	v_mul_f64_e32 v[232:233], s[50:51], v[170:171]
	s_delay_alu instid0(VALU_DEP_1) | instskip(NEXT) | instid1(VALU_DEP_1)
	v_fma_f64 v[234:235], v[22:23], s[16:17], v[232:233]
	v_add_f64_e32 v[234:235], v[234:235], v[188:189]
	v_fma_f64 v[188:189], v[18:19], s[28:29], -v[236:237]
	s_delay_alu instid0(VALU_DEP_1) | instskip(SKIP_1) | instid1(VALU_DEP_1)
	v_add_f64_e32 v[188:189], v[188:189], v[186:187]
	v_fma_f64 v[186:187], v[86:87], s[28:29], v[238:239]
	v_add_f64_e32 v[186:187], v[186:187], v[234:235]
	v_lshlrev_b64_e32 v[234:235], 4, v[20:21]
	v_add_nc_u32_e32 v20, s0, v20
	s_delay_alu instid0(VALU_DEP_2) | instskip(SKIP_1) | instid1(VALU_DEP_3)
	v_add_co_u32 v234, vcc_lo, v184, v234
	s_wait_alu 0xfffd
	v_add_co_ci_u32_e32 v235, vcc_lo, v185, v235, vcc_lo
	global_store_b128 v[234:235], v[186:189], off
	v_mul_f64_e32 v[234:235], s[36:37], v[198:199]
	v_fma_f64 v[188:189], v[60:61], s[26:27], -v[240:241]
	s_delay_alu instid0(VALU_DEP_2) | instskip(NEXT) | instid1(VALU_DEP_1)
	v_fma_f64 v[186:187], v[7:8], s[28:29], -v[234:235]
	v_add_f64_e32 v[186:187], v[3:4], v[186:187]
	s_delay_alu instid0(VALU_DEP_1) | instskip(SKIP_1) | instid1(VALU_DEP_1)
	v_add_f64_e32 v[186:187], v[188:189], v[186:187]
	v_fma_f64 v[188:189], v[16:17], s[28:29], v[242:243]
	v_add_f64_e32 v[188:189], v[1:2], v[188:189]
	s_delay_alu instid0(VALU_DEP_1) | instskip(SKIP_2) | instid1(VALU_DEP_2)
	v_add_f64_e32 v[188:189], v[246:247], v[188:189]
	v_mul_f64_e32 v[246:247], s[50:51], v[190:191]
	v_mul_f64_e32 v[190:191], s[38:39], v[190:191]
	v_fma_f64 v[248:249], v[50:51], s[16:17], -v[246:247]
	s_delay_alu instid0(VALU_DEP_1) | instskip(SKIP_2) | instid1(VALU_DEP_2)
	v_add_f64_e32 v[186:187], v[248:249], v[186:187]
	v_mul_f64_e32 v[248:249], s[50:51], v[192:193]
	v_mul_f64_e32 v[192:193], s[38:39], v[192:193]
	v_fma_f64 v[250:251], v[44:45], s[16:17], v[248:249]
	s_delay_alu instid0(VALU_DEP_1) | instskip(SKIP_2) | instid1(VALU_DEP_2)
	v_add_f64_e32 v[188:189], v[250:251], v[188:189]
	v_mul_f64_e32 v[250:251], s[38:39], v[180:181]
	v_mul_f64_e32 v[180:181], s[46:47], v[180:181]
	v_fma_f64 v[252:253], v[38:39], s[20:21], -v[250:251]
	s_delay_alu instid0(VALU_DEP_1) | instskip(SKIP_2) | instid1(VALU_DEP_2)
	v_add_f64_e32 v[186:187], v[252:253], v[186:187]
	v_mul_f64_e32 v[252:253], s[38:39], v[182:183]
	v_mul_f64_e32 v[182:183], s[46:47], v[182:183]
	v_fma_f64 v[254:255], v[34:35], s[20:21], v[252:253]
	s_delay_alu instid0(VALU_DEP_1) | instskip(SKIP_2) | instid1(VALU_DEP_2)
	v_add_f64_e32 v[188:189], v[254:255], v[188:189]
	v_mul_f64_e32 v[254:255], s[42:43], v[176:177]
	v_mul_f64_e32 v[176:177], s[36:37], v[176:177]
	v_fma_f64 v[36:37], v[32:33], s[24:25], -v[254:255]
	s_delay_alu instid0(VALU_DEP_1) | instskip(SKIP_1) | instid1(VALU_DEP_1)
	v_add_f64_e32 v[36:37], v[36:37], v[186:187]
	v_fma_f64 v[186:187], v[30:31], s[24:25], v[88:89]
	v_add_f64_e32 v[186:187], v[186:187], v[188:189]
	v_fma_f64 v[188:189], v[28:29], s[30:31], -v[84:85]
	s_delay_alu instid0(VALU_DEP_1) | instskip(SKIP_1) | instid1(VALU_DEP_1)
	v_add_f64_e32 v[36:37], v[188:189], v[36:37]
	v_fma_f64 v[188:189], v[26:27], s[30:31], v[82:83]
	v_add_f64_e32 v[186:187], v[188:189], v[186:187]
	;; [unrolled: 5-line block ×3, first 2 shown]
	v_fma_f64 v[188:189], v[18:19], s[22:23], -v[76:77]
	s_delay_alu instid0(VALU_DEP_2) | instskip(NEXT) | instid1(VALU_DEP_2)
	v_add_f64_e32 v[186:187], v[58:59], v[186:187]
	v_add_f64_e32 v[188:189], v[188:189], v[36:37]
	v_lshlrev_b64_e32 v[58:59], 4, v[20:21]
	v_mul_f64_e32 v[36:37], s[46:47], v[170:171]
	v_add_nc_u32_e32 v20, s0, v20
	v_mul_f64_e32 v[170:171], s[34:35], v[170:171]
	s_delay_alu instid0(VALU_DEP_4)
	v_add_co_u32 v58, vcc_lo, v184, v58
	s_wait_alu 0xfffd
	v_add_co_ci_u32_e32 v59, vcc_lo, v185, v59, vcc_lo
	global_store_b128 v[58:59], v[186:189], off
	v_mul_f64_e32 v[58:59], s[38:39], v[198:199]
	v_fma_f64 v[188:189], v[60:61], s[22:23], -v[72:73]
	s_delay_alu instid0(VALU_DEP_2) | instskip(NEXT) | instid1(VALU_DEP_1)
	v_fma_f64 v[186:187], v[7:8], s[20:21], -v[58:59]
	v_add_f64_e32 v[186:187], v[3:4], v[186:187]
	s_delay_alu instid0(VALU_DEP_1) | instskip(SKIP_2) | instid1(VALU_DEP_2)
	v_add_f64_e32 v[186:187], v[188:189], v[186:187]
	v_fma_f64 v[188:189], v[16:17], s[20:21], v[9:10]
	v_fma_f64 v[9:10], v[16:17], s[20:21], -v[9:10]
	v_add_f64_e32 v[188:189], v[1:2], v[188:189]
	s_delay_alu instid0(VALU_DEP_2) | instskip(NEXT) | instid1(VALU_DEP_2)
	v_add_f64_e32 v[9:10], v[1:2], v[9:10]
	v_add_f64_e32 v[68:69], v[68:69], v[188:189]
	v_fma_f64 v[188:189], v[50:51], s[24:25], -v[66:67]
	s_delay_alu instid0(VALU_DEP_1) | instskip(SKIP_1) | instid1(VALU_DEP_1)
	v_add_f64_e32 v[186:187], v[188:189], v[186:187]
	v_fma_f64 v[188:189], v[44:45], s[24:25], v[64:65]
	v_add_f64_e32 v[68:69], v[188:189], v[68:69]
	v_fma_f64 v[188:189], v[38:39], s[28:29], -v[62:63]
	s_delay_alu instid0(VALU_DEP_1) | instskip(SKIP_1) | instid1(VALU_DEP_1)
	v_add_f64_e32 v[186:187], v[188:189], v[186:187]
	v_fma_f64 v[188:189], v[34:35], s[28:29], v[54:55]
	;; [unrolled: 5-line block ×6, first 2 shown]
	v_add_f64_e32 v[186:187], v[186:187], v[68:69]
	v_lshlrev_b64_e32 v[68:69], 4, v[20:21]
	v_add_nc_u32_e32 v20, s0, v20
	s_delay_alu instid0(VALU_DEP_2) | instskip(SKIP_1) | instid1(VALU_DEP_3)
	v_add_co_u32 v68, vcc_lo, v184, v68
	s_wait_alu 0xfffd
	v_add_co_ci_u32_e32 v69, vcc_lo, v185, v69, vcc_lo
	global_store_b128 v[68:69], v[186:189], off
	v_mul_f64_e32 v[68:69], s[40:41], v[198:199]
	v_mul_f64_e32 v[186:187], s[48:49], v[194:195]
	s_delay_alu instid0(VALU_DEP_2) | instskip(NEXT) | instid1(VALU_DEP_2)
	v_fma_f64 v[188:189], v[7:8], s[18:19], -v[68:69]
	v_fma_f64 v[194:195], v[60:61], s[16:17], -v[186:187]
	v_fma_f64 v[68:69], v[7:8], s[18:19], v[68:69]
	s_delay_alu instid0(VALU_DEP_3) | instskip(NEXT) | instid1(VALU_DEP_2)
	v_add_f64_e32 v[188:189], v[3:4], v[188:189]
	v_add_f64_e32 v[68:69], v[3:4], v[68:69]
	s_delay_alu instid0(VALU_DEP_2) | instskip(SKIP_2) | instid1(VALU_DEP_2)
	v_add_f64_e32 v[188:189], v[194:195], v[188:189]
	v_mul_f64_e32 v[194:195], s[40:41], v[200:201]
	v_fma_f64 v[200:201], v[56:57], s[16:17], v[196:197]
	v_fma_f64 v[198:199], v[16:17], s[18:19], v[194:195]
	s_delay_alu instid0(VALU_DEP_1) | instskip(NEXT) | instid1(VALU_DEP_1)
	v_add_f64_e32 v[198:199], v[1:2], v[198:199]
	v_add_f64_e32 v[198:199], v[200:201], v[198:199]
	v_fma_f64 v[200:201], v[50:51], s[20:21], -v[190:191]
	s_delay_alu instid0(VALU_DEP_1) | instskip(SKIP_1) | instid1(VALU_DEP_1)
	v_add_f64_e32 v[188:189], v[200:201], v[188:189]
	v_fma_f64 v[200:201], v[44:45], s[20:21], v[192:193]
	v_add_f64_e32 v[198:199], v[200:201], v[198:199]
	v_fma_f64 v[200:201], v[38:39], s[30:31], -v[180:181]
	s_delay_alu instid0(VALU_DEP_1) | instskip(SKIP_1) | instid1(VALU_DEP_1)
	v_add_f64_e32 v[188:189], v[200:201], v[188:189]
	v_fma_f64 v[200:201], v[34:35], s[30:31], v[182:183]
	;; [unrolled: 5-line block ×5, first 2 shown]
	v_add_f64_e32 v[198:199], v[200:201], v[198:199]
	v_mul_f64_e32 v[200:201], s[42:43], v[164:165]
	s_delay_alu instid0(VALU_DEP_1) | instskip(NEXT) | instid1(VALU_DEP_1)
	v_fma_f64 v[164:165], v[18:19], s[24:25], -v[200:201]
	v_add_f64_e32 v[166:167], v[164:165], v[188:189]
	v_fma_f64 v[164:165], v[86:87], s[24:25], v[5:6]
	v_lshlrev_b64_e32 v[188:189], 4, v[20:21]
	v_fma_f64 v[5:6], v[86:87], s[24:25], -v[5:6]
	v_add_nc_u32_e32 v20, s0, v20
	s_delay_alu instid0(VALU_DEP_3) | instskip(SKIP_1) | instid1(VALU_DEP_4)
	v_add_co_u32 v188, vcc_lo, v184, v188
	s_wait_alu 0xfffd
	v_add_co_ci_u32_e32 v189, vcc_lo, v185, v189, vcc_lo
	v_add_f64_e32 v[164:165], v[164:165], v[198:199]
	global_store_b128 v[188:189], v[164:167], off
	v_fma_f64 v[164:165], v[60:61], s[16:17], v[186:187]
	v_fma_f64 v[166:167], v[56:57], s[16:17], -v[196:197]
	s_delay_alu instid0(VALU_DEP_2) | instskip(SKIP_1) | instid1(VALU_DEP_1)
	v_add_f64_e32 v[68:69], v[164:165], v[68:69]
	v_fma_f64 v[164:165], v[16:17], s[18:19], -v[194:195]
	v_add_f64_e32 v[164:165], v[1:2], v[164:165]
	s_delay_alu instid0(VALU_DEP_1) | instskip(SKIP_1) | instid1(VALU_DEP_1)
	v_add_f64_e32 v[164:165], v[166:167], v[164:165]
	v_fma_f64 v[166:167], v[50:51], s[20:21], v[190:191]
	v_add_f64_e32 v[68:69], v[166:167], v[68:69]
	v_fma_f64 v[166:167], v[44:45], s[20:21], -v[192:193]
	s_delay_alu instid0(VALU_DEP_1) | instskip(SKIP_1) | instid1(VALU_DEP_1)
	v_add_f64_e32 v[164:165], v[166:167], v[164:165]
	v_fma_f64 v[166:167], v[38:39], s[30:31], v[180:181]
	v_add_f64_e32 v[68:69], v[166:167], v[68:69]
	v_fma_f64 v[166:167], v[34:35], s[30:31], -v[182:183]
	;; [unrolled: 5-line block ×4, first 2 shown]
	s_delay_alu instid0(VALU_DEP_1) | instskip(SKIP_2) | instid1(VALU_DEP_2)
	v_add_f64_e32 v[164:165], v[166:167], v[164:165]
	v_fma_f64 v[166:167], v[24:25], s[26:27], v[168:169]
	v_fma_f64 v[168:169], v[16:17], s[24:25], -v[204:205]
	v_add_f64_e32 v[68:69], v[166:167], v[68:69]
	v_fma_f64 v[166:167], v[22:23], s[26:27], -v[170:171]
	s_delay_alu instid0(VALU_DEP_1) | instskip(SKIP_1) | instid1(VALU_DEP_2)
	v_add_f64_e32 v[164:165], v[166:167], v[164:165]
	v_fma_f64 v[166:167], v[18:19], s[24:25], v[200:201]
	v_add_f64_e32 v[164:165], v[5:6], v[164:165]
	s_delay_alu instid0(VALU_DEP_2) | instskip(SKIP_3) | instid1(VALU_DEP_3)
	v_add_f64_e32 v[166:167], v[166:167], v[68:69]
	v_lshlrev_b64_e32 v[5:6], 4, v[20:21]
	v_fma_f64 v[68:69], v[7:8], s[26:27], v[206:207]
	v_add_nc_u32_e32 v20, s0, v20
	v_add_co_u32 v5, vcc_lo, v184, v5
	s_wait_alu 0xfffd
	s_delay_alu instid0(VALU_DEP_4)
	v_add_co_ci_u32_e32 v6, vcc_lo, v185, v6, vcc_lo
	global_store_b128 v[5:6], v[164:167], off
	v_fma_f64 v[5:6], v[7:8], s[20:21], v[58:59]
	v_fma_f64 v[58:59], v[7:8], s[28:29], v[234:235]
	;; [unrolled: 1-line block ×4, first 2 shown]
	v_fma_f64 v[92:93], v[16:17], s[28:29], -v[242:243]
	v_fma_f64 v[166:167], v[16:17], s[26:27], -v[210:211]
	;; [unrolled: 1-line block ×3, first 2 shown]
	v_add_f64_e32 v[68:69], v[3:4], v[68:69]
	v_add_f64_e32 v[5:6], v[3:4], v[5:6]
	;; [unrolled: 1-line block ×8, first 2 shown]
	v_fma_f64 v[0:1], v[60:61], s[22:23], v[72:73]
	v_add_f64_e32 v[168:169], v[3:4], v[7:8]
	v_fma_f64 v[2:3], v[56:57], s[22:23], -v[70:71]
	s_delay_alu instid0(VALU_DEP_3) | instskip(SKIP_1) | instid1(VALU_DEP_3)
	v_add_f64_e32 v[0:1], v[0:1], v[5:6]
	v_fma_f64 v[4:5], v[50:51], s[24:25], v[66:67]
	v_add_f64_e32 v[2:3], v[2:3], v[9:10]
	v_fma_f64 v[6:7], v[86:87], s[26:27], -v[11:12]
	v_fma_f64 v[8:9], v[50:51], s[16:17], v[246:247]
	v_fma_f64 v[10:11], v[86:87], s[22:23], -v[74:75]
	scratch_load_b64 v[66:67], off, off offset:72 th:TH_LOAD_LU ; 8-byte Folded Reload
	v_add_f64_e32 v[0:1], v[4:5], v[0:1]
	v_fma_f64 v[4:5], v[44:45], s[24:25], -v[64:65]
	scratch_load_b64 v[64:65], off, off offset:184 th:TH_LOAD_LU ; 8-byte Folded Reload
	v_add_f64_e32 v[2:3], v[4:5], v[2:3]
	v_fma_f64 v[4:5], v[38:39], s[28:29], v[62:63]
	s_delay_alu instid0(VALU_DEP_1) | instskip(SKIP_2) | instid1(VALU_DEP_2)
	v_add_f64_e32 v[0:1], v[4:5], v[0:1]
	v_fma_f64 v[4:5], v[34:35], s[28:29], -v[54:55]
	v_fma_f64 v[54:55], v[50:51], s[18:19], v[124:125]
	v_add_f64_e32 v[2:3], v[4:5], v[2:3]
	v_fma_f64 v[4:5], v[32:33], s[16:17], v[52:53]
	scratch_load_b64 v[52:53], off, off offset:104 th:TH_LOAD_LU ; 8-byte Folded Reload
	v_add_f64_e32 v[0:1], v[4:5], v[0:1]
	v_fma_f64 v[4:5], v[30:31], s[16:17], -v[48:49]
	v_fma_f64 v[48:49], v[56:57], s[24:25], -v[100:101]
	s_delay_alu instid0(VALU_DEP_2) | instskip(SKIP_2) | instid1(VALU_DEP_4)
	v_add_f64_e32 v[2:3], v[4:5], v[2:3]
	v_fma_f64 v[4:5], v[28:29], s[18:19], v[46:47]
	v_fma_f64 v[46:47], v[56:57], s[28:29], -v[126:127]
	v_add_f64_e32 v[48:49], v[48:49], v[90:91]
	s_delay_alu instid0(VALU_DEP_3)
	v_add_f64_e32 v[0:1], v[4:5], v[0:1]
	v_fma_f64 v[4:5], v[26:27], s[18:19], -v[42:43]
	scratch_load_b64 v[42:43], off, off offset:88 th:TH_LOAD_LU ; 8-byte Folded Reload
	v_add_f64_e32 v[46:47], v[46:47], v[160:161]
	v_add_f64_e32 v[2:3], v[4:5], v[2:3]
	v_fma_f64 v[4:5], v[24:25], s[30:31], v[40:41]
	v_fma_f64 v[40:41], v[86:87], s[30:31], -v[158:159]
	s_delay_alu instid0(VALU_DEP_2) | instskip(SKIP_2) | instid1(VALU_DEP_2)
	v_add_f64_e32 v[0:1], v[4:5], v[0:1]
	v_fma_f64 v[4:5], v[22:23], s[30:31], -v[36:37]
	v_fma_f64 v[36:37], v[50:51], s[26:27], v[136:137]
	v_add_f64_e32 v[4:5], v[4:5], v[2:3]
	v_fma_f64 v[2:3], v[18:19], s[26:27], v[13:14]
	v_fma_f64 v[12:13], v[50:51], s[30:31], v[214:215]
	v_fma_f64 v[14:15], v[86:87], s[28:29], -v[238:239]
	s_delay_alu instid0(VALU_DEP_3) | instskip(SKIP_3) | instid1(VALU_DEP_2)
	v_add_f64_e32 v[2:3], v[2:3], v[0:1]
	v_add_f64_e32 v[0:1], v[6:7], v[4:5]
	v_fma_f64 v[4:5], v[60:61], s[26:27], v[240:241]
	v_fma_f64 v[6:7], v[56:57], s[26:27], -v[244:245]
	v_add_f64_e32 v[4:5], v[4:5], v[58:59]
	scratch_load_b64 v[58:59], off, off offset:96 th:TH_LOAD_LU ; 8-byte Folded Reload
	v_add_f64_e32 v[6:7], v[6:7], v[92:93]
	scratch_load_b64 v[62:63], off, off offset:80 th:TH_LOAD_LU ; 8-byte Folded Reload
	v_add_f64_e32 v[4:5], v[8:9], v[4:5]
	v_fma_f64 v[8:9], v[44:45], s[16:17], -v[248:249]
	s_delay_alu instid0(VALU_DEP_1) | instskip(SKIP_1) | instid1(VALU_DEP_1)
	v_add_f64_e32 v[6:7], v[8:9], v[6:7]
	v_fma_f64 v[8:9], v[38:39], s[20:21], v[250:251]
	v_add_f64_e32 v[4:5], v[8:9], v[4:5]
	v_fma_f64 v[8:9], v[34:35], s[20:21], -v[252:253]
	s_wait_loadcnt 0x2
	v_fma_f64 v[42:43], v[60:61], s[30:31], v[42:43]
	s_delay_alu instid0(VALU_DEP_2) | instskip(SKIP_1) | instid1(VALU_DEP_3)
	v_add_f64_e32 v[6:7], v[8:9], v[6:7]
	v_fma_f64 v[8:9], v[32:33], s[24:25], v[254:255]
	v_add_f64_e32 v[42:43], v[42:43], v[168:169]
	s_delay_alu instid0(VALU_DEP_2) | instskip(SKIP_1) | instid1(VALU_DEP_1)
	v_add_f64_e32 v[4:5], v[8:9], v[4:5]
	v_fma_f64 v[8:9], v[30:31], s[24:25], -v[88:89]
	v_add_f64_e32 v[6:7], v[8:9], v[6:7]
	v_fma_f64 v[8:9], v[28:29], s[30:31], v[84:85]
	s_delay_alu instid0(VALU_DEP_1) | instskip(SKIP_1) | instid1(VALU_DEP_1)
	v_add_f64_e32 v[4:5], v[8:9], v[4:5]
	v_fma_f64 v[8:9], v[26:27], s[30:31], -v[82:83]
	v_add_f64_e32 v[6:7], v[8:9], v[6:7]
	v_fma_f64 v[8:9], v[24:25], s[18:19], v[80:81]
	s_delay_alu instid0(VALU_DEP_1) | instskip(SKIP_1) | instid1(VALU_DEP_1)
	v_add_f64_e32 v[4:5], v[8:9], v[4:5]
	v_fma_f64 v[8:9], v[22:23], s[18:19], -v[78:79]
	v_add_f64_e32 v[8:9], v[8:9], v[6:7]
	v_fma_f64 v[6:7], v[18:19], s[22:23], v[76:77]
	s_delay_alu instid0(VALU_DEP_1) | instskip(NEXT) | instid1(VALU_DEP_3)
	v_add_f64_e32 v[6:7], v[6:7], v[4:5]
	v_add_f64_e32 v[4:5], v[10:11], v[8:9]
	v_fma_f64 v[8:9], v[60:61], s[20:21], v[208:209]
	v_fma_f64 v[10:11], v[56:57], s[20:21], -v[212:213]
	s_delay_alu instid0(VALU_DEP_2) | instskip(NEXT) | instid1(VALU_DEP_2)
	v_add_f64_e32 v[8:9], v[8:9], v[68:69]
	v_add_f64_e32 v[10:11], v[10:11], v[94:95]
	s_delay_alu instid0(VALU_DEP_2) | instskip(SKIP_1) | instid1(VALU_DEP_1)
	v_add_f64_e32 v[8:9], v[12:13], v[8:9]
	v_fma_f64 v[12:13], v[44:45], s[30:31], -v[216:217]
	v_add_f64_e32 v[10:11], v[12:13], v[10:11]
	v_fma_f64 v[12:13], v[38:39], s[22:23], v[218:219]
	s_delay_alu instid0(VALU_DEP_1) | instskip(SKIP_1) | instid1(VALU_DEP_1)
	v_add_f64_e32 v[8:9], v[12:13], v[8:9]
	v_fma_f64 v[12:13], v[34:35], s[22:23], -v[220:221]
	v_add_f64_e32 v[10:11], v[12:13], v[10:11]
	v_fma_f64 v[12:13], v[32:33], s[18:19], v[222:223]
	s_delay_alu instid0(VALU_DEP_1) | instskip(SKIP_1) | instid1(VALU_DEP_1)
	;; [unrolled: 5-line block ×4, first 2 shown]
	v_add_f64_e32 v[8:9], v[12:13], v[8:9]
	v_fma_f64 v[12:13], v[22:23], s[16:17], -v[232:233]
	v_add_f64_e32 v[12:13], v[12:13], v[10:11]
	v_fma_f64 v[10:11], v[18:19], s[28:29], v[236:237]
	s_delay_alu instid0(VALU_DEP_1) | instskip(NEXT) | instid1(VALU_DEP_3)
	v_add_f64_e32 v[10:11], v[10:11], v[8:9]
	v_add_f64_e32 v[8:9], v[14:15], v[12:13]
	v_fma_f64 v[12:13], v[60:61], s[18:19], v[132:133]
	v_fma_f64 v[14:15], v[56:57], s[18:19], -v[134:135]
	s_delay_alu instid0(VALU_DEP_2) | instskip(NEXT) | instid1(VALU_DEP_2)
	v_add_f64_e32 v[12:13], v[12:13], v[164:165]
	v_add_f64_e32 v[14:15], v[14:15], v[166:167]
	s_delay_alu instid0(VALU_DEP_2) | instskip(SKIP_1) | instid1(VALU_DEP_1)
	v_add_f64_e32 v[12:13], v[36:37], v[12:13]
	v_fma_f64 v[36:37], v[44:45], s[26:27], -v[138:139]
	v_add_f64_e32 v[14:15], v[36:37], v[14:15]
	v_fma_f64 v[36:37], v[38:39], s[16:17], v[140:141]
	s_delay_alu instid0(VALU_DEP_1) | instskip(SKIP_1) | instid1(VALU_DEP_1)
	v_add_f64_e32 v[12:13], v[36:37], v[12:13]
	v_fma_f64 v[36:37], v[34:35], s[16:17], -v[142:143]
	v_add_f64_e32 v[14:15], v[36:37], v[14:15]
	v_fma_f64 v[36:37], v[32:33], s[22:23], v[144:145]
	s_delay_alu instid0(VALU_DEP_1) | instskip(SKIP_1) | instid1(VALU_DEP_1)
	;; [unrolled: 5-line block ×4, first 2 shown]
	v_add_f64_e32 v[12:13], v[36:37], v[12:13]
	v_fma_f64 v[36:37], v[22:23], s[28:29], -v[154:155]
	v_add_f64_e32 v[36:37], v[36:37], v[14:15]
	v_fma_f64 v[14:15], v[18:19], s[30:31], v[156:157]
	s_delay_alu instid0(VALU_DEP_1) | instskip(NEXT) | instid1(VALU_DEP_3)
	v_add_f64_e32 v[14:15], v[14:15], v[12:13]
	v_add_f64_e32 v[12:13], v[40:41], v[36:37]
	v_fma_f64 v[36:37], v[60:61], s[28:29], v[128:129]
	v_fma_f64 v[40:41], v[60:61], s[24:25], v[96:97]
	scratch_load_b64 v[60:61], off, off offset:192 th:TH_LOAD_LU ; 8-byte Folded Reload
	v_add_f64_e32 v[36:37], v[36:37], v[162:163]
	v_add_f64_e32 v[40:41], v[40:41], v[130:131]
	s_delay_alu instid0(VALU_DEP_2)
	v_add_f64_e32 v[36:37], v[54:55], v[36:37]
	scratch_load_b64 v[54:55], off, off offset:176 th:TH_LOAD_LU ; 8-byte Folded Reload
	v_fma_f64 v[52:53], v[56:57], s[30:31], -v[52:53]
	v_fma_f64 v[56:57], v[50:51], s[28:29], v[98:99]
	s_wait_loadcnt 0x3
	v_fma_f64 v[50:51], v[50:51], s[22:23], v[58:59]
	v_fma_f64 v[58:59], v[44:45], s[18:19], -v[122:123]
	v_fma_f64 v[64:65], v[38:39], s[18:19], v[64:65]
	v_add_f64_e32 v[16:17], v[52:53], v[16:17]
	v_add_f64_e32 v[40:41], v[56:57], v[40:41]
	v_fma_f64 v[52:53], v[34:35], s[26:27], -v[118:119]
	v_add_f64_e32 v[46:47], v[58:59], v[46:47]
	s_clause 0x1
	scratch_load_b64 v[56:57], off, off offset:64 th:TH_LOAD_LU
	scratch_load_b64 v[58:59], off, off offset:168 th:TH_LOAD_LU
	v_add_f64_e32 v[42:43], v[50:51], v[42:43]
	scratch_load_b64 v[50:51], off, off offset:160 th:TH_LOAD_LU ; 8-byte Folded Reload
	v_add_f64_e32 v[40:41], v[64:65], v[40:41]
	s_wait_loadcnt 0x4
	v_fma_f64 v[60:61], v[44:45], s[28:29], -v[60:61]
	v_fma_f64 v[44:45], v[44:45], s[22:23], -v[62:63]
	v_fma_f64 v[62:63], v[38:39], s[26:27], v[120:121]
	s_delay_alu instid0(VALU_DEP_3)
	v_add_f64_e32 v[48:49], v[60:61], v[48:49]
	scratch_load_b64 v[60:61], off, off offset:56 th:TH_LOAD_LU ; 8-byte Folded Reload
	v_add_f64_e32 v[16:17], v[44:45], v[16:17]
	v_add_f64_e32 v[44:45], v[52:53], v[46:47]
	scratch_load_b64 v[52:53], off, off offset:48 th:TH_LOAD_LU ; 8-byte Folded Reload
	v_add_f64_e32 v[36:37], v[62:63], v[36:37]
	s_wait_loadcnt 0x5
	v_fma_f64 v[54:55], v[34:35], s[18:19], -v[54:55]
	s_delay_alu instid0(VALU_DEP_1)
	v_add_f64_e32 v[46:47], v[54:55], v[48:49]
	v_fma_f64 v[48:49], v[30:31], s[30:31], -v[114:115]
	scratch_load_b64 v[54:55], off, off offset:152 th:TH_LOAD_LU ; 8-byte Folded Reload
	s_wait_loadcnt 0x5
	v_fma_f64 v[34:35], v[34:35], s[24:25], -v[56:57]
	v_fma_f64 v[56:57], v[32:33], s[30:31], v[116:117]
	s_wait_loadcnt 0x4
	v_fma_f64 v[58:59], v[32:33], s[20:21], v[58:59]
	s_wait_loadcnt 0x3
	v_fma_f64 v[50:51], v[30:31], s[20:21], -v[50:51]
	s_delay_alu instid0(VALU_DEP_4) | instskip(NEXT) | instid1(VALU_DEP_4)
	v_add_f64_e32 v[16:17], v[34:35], v[16:17]
	v_add_f64_e32 v[34:35], v[56:57], v[36:37]
	;; [unrolled: 1-line block ×3, first 2 shown]
	s_clause 0x1
	scratch_load_b64 v[48:49], off, off offset:32 th:TH_LOAD_LU
	scratch_load_b64 v[56:57], off, off offset:24 th:TH_LOAD_LU
	v_fma_f64 v[44:45], v[26:27], s[16:17], -v[110:111]
	v_add_f64_e32 v[40:41], v[58:59], v[40:41]
	s_wait_loadcnt 0x4
	v_fma_f64 v[32:33], v[32:33], s[26:27], v[60:61]
	scratch_load_b64 v[60:61], off, off offset:40 th:TH_LOAD_LU ; 8-byte Folded Reload
	v_fma_f64 v[38:39], v[38:39], s[24:25], v[66:67]
	s_wait_loadcnt 0x4
	v_fma_f64 v[30:31], v[30:31], s[26:27], -v[52:53]
	v_fma_f64 v[52:53], v[28:29], s[16:17], v[112:113]
	s_delay_alu instid0(VALU_DEP_3)
	v_add_f64_e32 v[38:39], v[38:39], v[42:43]
	v_add_f64_e32 v[42:43], v[50:51], v[46:47]
	s_clause 0x1
	scratch_load_b64 v[46:47], off, off offset:144 th:TH_LOAD_LU
	scratch_load_b64 v[50:51], off, off offset:136 th:TH_LOAD_LU
	v_add_f64_e32 v[16:17], v[30:31], v[16:17]
	scratch_load_b64 v[30:31], off, off offset:128 th:TH_LOAD_LU ; 8-byte Folded Reload
	s_wait_loadcnt 0x4
	v_fma_f64 v[56:57], v[24:25], s[20:21], v[56:57]
	s_wait_loadcnt 0x2
	v_fma_f64 v[46:47], v[26:27], s[26:27], -v[46:47]
	v_fma_f64 v[26:27], v[26:27], s[28:29], -v[48:49]
	v_fma_f64 v[48:49], v[24:25], s[24:25], v[108:109]
	s_wait_loadcnt 0x1
	v_fma_f64 v[50:51], v[24:25], s[22:23], v[50:51]
	v_add_f64_e32 v[24:25], v[32:33], v[38:39]
	v_add_f64_e32 v[32:33], v[52:53], v[34:35]
	;; [unrolled: 1-line block ×4, first 2 shown]
	s_wait_loadcnt 0x0
	v_fma_f64 v[42:43], v[22:23], s[22:23], -v[30:31]
	scratch_load_b64 v[30:31], off, off offset:16 th:TH_LOAD_LU ; 8-byte Folded Reload
	v_fma_f64 v[54:55], v[28:29], s[26:27], v[54:55]
	v_add_f64_e32 v[16:17], v[26:27], v[16:17]
	v_fma_f64 v[46:47], v[18:19], s[20:21], v[104:105]
	s_delay_alu instid0(VALU_DEP_3) | instskip(SKIP_1) | instid1(VALU_DEP_1)
	v_add_f64_e32 v[36:37], v[54:55], v[40:41]
	v_fma_f64 v[40:41], v[22:23], s[24:25], -v[106:107]
	v_add_f64_e32 v[40:41], v[40:41], v[34:35]
	v_add_f64_e32 v[34:35], v[42:43], v[38:39]
	s_wait_loadcnt 0x0
	v_fma_f64 v[44:45], v[22:23], s[20:21], -v[30:31]
	scratch_load_b64 v[22:23], off, off offset:120 th:TH_LOAD_LU ; 8-byte Folded Reload
	s_wait_loadcnt 0x0
	v_fma_f64 v[30:31], v[18:19], s[16:17], v[22:23]
	scratch_load_b64 v[22:23], off, off offset:8 th:TH_LOAD_LU ; 8-byte Folded Reload
	v_fma_f64 v[28:29], v[28:29], s[28:29], v[60:61]
	s_delay_alu instid0(VALU_DEP_1)
	v_add_f64_e32 v[28:29], v[28:29], v[24:25]
	scratch_load_b64 v[24:25], off, off offset:112 th:TH_LOAD_LU ; 8-byte Folded Reload
	v_add_f64_e32 v[26:27], v[56:57], v[28:29]
	v_add_f64_e32 v[28:29], v[44:45], v[16:17]
	s_wait_loadcnt 0x0
	v_fma_f64 v[38:39], v[86:87], s[16:17], -v[24:25]
	scratch_load_b64 v[24:25], off, off th:TH_LOAD_LU ; 8-byte Folded Reload
	v_fma_f64 v[22:23], v[18:19], s[18:19], v[22:23]
	v_add_f64_e32 v[18:19], v[48:49], v[32:33]
	v_add_f64_e32 v[32:33], v[50:51], v[36:37]
	v_fma_f64 v[36:37], v[86:87], s[20:21], -v[102:103]
	s_delay_alu instid0(VALU_DEP_4) | instskip(NEXT) | instid1(VALU_DEP_4)
	v_add_f64_e32 v[26:27], v[22:23], v[26:27]
	v_add_f64_e32 v[18:19], v[46:47], v[18:19]
	s_delay_alu instid0(VALU_DEP_4) | instskip(NEXT) | instid1(VALU_DEP_4)
	v_add_f64_e32 v[32:33], v[30:31], v[32:33]
	v_add_f64_e32 v[16:17], v[36:37], v[40:41]
	v_lshlrev_b64_e32 v[36:37], 4, v[20:21]
	v_add_nc_u32_e32 v20, s0, v20
	v_add_f64_e32 v[30:31], v[38:39], v[34:35]
	s_delay_alu instid0(VALU_DEP_2) | instskip(SKIP_4) | instid1(VALU_DEP_3)
	v_lshlrev_b64_e32 v[40:41], 4, v[20:21]
	v_add_nc_u32_e32 v20, s0, v20
	v_add_co_u32 v36, vcc_lo, v184, v36
	s_wait_alu 0xfffd
	v_add_co_ci_u32_e32 v37, vcc_lo, v185, v37, vcc_lo
	v_lshlrev_b64_e32 v[34:35], 4, v[20:21]
	v_add_nc_u32_e32 v20, s0, v20
	v_add_co_u32 v38, vcc_lo, v184, v40
	s_wait_alu 0xfffd
	v_add_co_ci_u32_e32 v39, vcc_lo, v185, v41, vcc_lo
	s_delay_alu instid0(VALU_DEP_3) | instskip(SKIP_4) | instid1(VALU_DEP_3)
	v_lshlrev_b64_e32 v[40:41], 4, v[20:21]
	v_add_nc_u32_e32 v20, s0, v20
	v_add_co_u32 v34, vcc_lo, v184, v34
	s_wait_alu 0xfffd
	v_add_co_ci_u32_e32 v35, vcc_lo, v185, v35, vcc_lo
	v_lshlrev_b64_e32 v[22:23], 4, v[20:21]
	v_add_nc_u32_e32 v20, s0, v20
	s_wait_loadcnt 0x0
	v_fma_f64 v[24:25], v[86:87], s[18:19], -v[24:25]
	s_delay_alu instid0(VALU_DEP_1)
	v_add_f64_e32 v[24:25], v[24:25], v[28:29]
	v_add_co_u32 v28, vcc_lo, v184, v40
	s_wait_alu 0xfffd
	v_add_co_ci_u32_e32 v29, vcc_lo, v185, v41, vcc_lo
	v_lshlrev_b64_e32 v[40:41], 4, v[20:21]
	v_add_nc_u32_e32 v20, s0, v20
	v_add_co_u32 v22, vcc_lo, v184, v22
	s_wait_alu 0xfffd
	v_add_co_ci_u32_e32 v23, vcc_lo, v185, v23, vcc_lo
	s_delay_alu instid0(VALU_DEP_3) | instskip(SKIP_3) | instid1(VALU_DEP_3)
	v_lshlrev_b64_e32 v[20:21], 4, v[20:21]
	v_add_co_u32 v40, vcc_lo, v184, v40
	s_wait_alu 0xfffd
	v_add_co_ci_u32_e32 v41, vcc_lo, v185, v41, vcc_lo
	v_add_co_u32 v20, vcc_lo, v184, v20
	s_wait_alu 0xfffd
	v_add_co_ci_u32_e32 v21, vcc_lo, v185, v21, vcc_lo
	s_clause 0x6
	global_store_b128 v[36:37], v[0:3], off
	global_store_b128 v[38:39], v[4:7], off
	global_store_b128 v[34:35], v[8:11], off
	global_store_b128 v[28:29], v[12:15], off
	global_store_b128 v[22:23], v[16:19], off
	global_store_b128 v[40:41], v[30:33], off
	global_store_b128 v[20:21], v[24:27], off
.LBB0_8:
	s_endpgm
	.section	.rodata,"a",@progbits
	.p2align	6, 0x0
	.amdhsa_kernel fft_rtc_back_len289_factors_17_17_wgs_119_tpt_17_dp_op_CI_CI_sbrc_z_xy_unaligned_dirReg
		.amdhsa_group_segment_fixed_size 0
		.amdhsa_private_segment_fixed_size 204
		.amdhsa_kernarg_size 104
		.amdhsa_user_sgpr_count 2
		.amdhsa_user_sgpr_dispatch_ptr 0
		.amdhsa_user_sgpr_queue_ptr 0
		.amdhsa_user_sgpr_kernarg_segment_ptr 1
		.amdhsa_user_sgpr_dispatch_id 0
		.amdhsa_user_sgpr_private_segment_size 0
		.amdhsa_wavefront_size32 1
		.amdhsa_uses_dynamic_stack 0
		.amdhsa_enable_private_segment 1
		.amdhsa_system_sgpr_workgroup_id_x 1
		.amdhsa_system_sgpr_workgroup_id_y 0
		.amdhsa_system_sgpr_workgroup_id_z 0
		.amdhsa_system_sgpr_workgroup_info 0
		.amdhsa_system_vgpr_workitem_id 0
		.amdhsa_next_free_vgpr 256
		.amdhsa_next_free_sgpr 66
		.amdhsa_reserve_vcc 1
		.amdhsa_float_round_mode_32 0
		.amdhsa_float_round_mode_16_64 0
		.amdhsa_float_denorm_mode_32 3
		.amdhsa_float_denorm_mode_16_64 3
		.amdhsa_fp16_overflow 0
		.amdhsa_workgroup_processor_mode 1
		.amdhsa_memory_ordered 1
		.amdhsa_forward_progress 0
		.amdhsa_round_robin_scheduling 0
		.amdhsa_exception_fp_ieee_invalid_op 0
		.amdhsa_exception_fp_denorm_src 0
		.amdhsa_exception_fp_ieee_div_zero 0
		.amdhsa_exception_fp_ieee_overflow 0
		.amdhsa_exception_fp_ieee_underflow 0
		.amdhsa_exception_fp_ieee_inexact 0
		.amdhsa_exception_int_div_zero 0
	.end_amdhsa_kernel
	.text
.Lfunc_end0:
	.size	fft_rtc_back_len289_factors_17_17_wgs_119_tpt_17_dp_op_CI_CI_sbrc_z_xy_unaligned_dirReg, .Lfunc_end0-fft_rtc_back_len289_factors_17_17_wgs_119_tpt_17_dp_op_CI_CI_sbrc_z_xy_unaligned_dirReg
                                        ; -- End function
	.section	.AMDGPU.csdata,"",@progbits
; Kernel info:
; codeLenInByte = 16224
; NumSgprs: 68
; NumVgprs: 256
; ScratchSize: 204
; MemoryBound: 0
; FloatMode: 240
; IeeeMode: 1
; LDSByteSize: 0 bytes/workgroup (compile time only)
; SGPRBlocks: 8
; VGPRBlocks: 31
; NumSGPRsForWavesPerEU: 68
; NumVGPRsForWavesPerEU: 256
; Occupancy: 5
; WaveLimiterHint : 1
; COMPUTE_PGM_RSRC2:SCRATCH_EN: 1
; COMPUTE_PGM_RSRC2:USER_SGPR: 2
; COMPUTE_PGM_RSRC2:TRAP_HANDLER: 0
; COMPUTE_PGM_RSRC2:TGID_X_EN: 1
; COMPUTE_PGM_RSRC2:TGID_Y_EN: 0
; COMPUTE_PGM_RSRC2:TGID_Z_EN: 0
; COMPUTE_PGM_RSRC2:TIDIG_COMP_CNT: 0
	.text
	.p2alignl 7, 3214868480
	.fill 96, 4, 3214868480
	.type	__hip_cuid_d316692abbcc1b18,@object ; @__hip_cuid_d316692abbcc1b18
	.section	.bss,"aw",@nobits
	.globl	__hip_cuid_d316692abbcc1b18
__hip_cuid_d316692abbcc1b18:
	.byte	0                               ; 0x0
	.size	__hip_cuid_d316692abbcc1b18, 1

	.ident	"AMD clang version 19.0.0git (https://github.com/RadeonOpenCompute/llvm-project roc-6.4.0 25133 c7fe45cf4b819c5991fe208aaa96edf142730f1d)"
	.section	".note.GNU-stack","",@progbits
	.addrsig
	.addrsig_sym __hip_cuid_d316692abbcc1b18
	.amdgpu_metadata
---
amdhsa.kernels:
  - .args:
      - .actual_access:  read_only
        .address_space:  global
        .offset:         0
        .size:           8
        .value_kind:     global_buffer
      - .offset:         8
        .size:           8
        .value_kind:     by_value
      - .actual_access:  read_only
        .address_space:  global
        .offset:         16
        .size:           8
        .value_kind:     global_buffer
      - .actual_access:  read_only
        .address_space:  global
        .offset:         24
        .size:           8
        .value_kind:     global_buffer
      - .actual_access:  read_only
        .address_space:  global
        .offset:         32
        .size:           8
        .value_kind:     global_buffer
      - .offset:         40
        .size:           8
        .value_kind:     by_value
      - .actual_access:  read_only
        .address_space:  global
        .offset:         48
        .size:           8
        .value_kind:     global_buffer
      - .actual_access:  read_only
        .address_space:  global
        .offset:         56
        .size:           8
        .value_kind:     global_buffer
      - .offset:         64
        .size:           4
        .value_kind:     by_value
      - .actual_access:  read_only
        .address_space:  global
        .offset:         72
        .size:           8
        .value_kind:     global_buffer
      - .actual_access:  read_only
        .address_space:  global
        .offset:         80
        .size:           8
        .value_kind:     global_buffer
      - .actual_access:  read_only
        .address_space:  global
        .offset:         88
        .size:           8
        .value_kind:     global_buffer
      - .actual_access:  write_only
        .address_space:  global
        .offset:         96
        .size:           8
        .value_kind:     global_buffer
    .group_segment_fixed_size: 0
    .kernarg_segment_align: 8
    .kernarg_segment_size: 104
    .language:       OpenCL C
    .language_version:
      - 2
      - 0
    .max_flat_workgroup_size: 119
    .name:           fft_rtc_back_len289_factors_17_17_wgs_119_tpt_17_dp_op_CI_CI_sbrc_z_xy_unaligned_dirReg
    .private_segment_fixed_size: 204
    .sgpr_count:     68
    .sgpr_spill_count: 0
    .symbol:         fft_rtc_back_len289_factors_17_17_wgs_119_tpt_17_dp_op_CI_CI_sbrc_z_xy_unaligned_dirReg.kd
    .uniform_work_group_size: 1
    .uses_dynamic_stack: false
    .vgpr_count:     256
    .vgpr_spill_count: 66
    .wavefront_size: 32
    .workgroup_processor_mode: 1
amdhsa.target:   amdgcn-amd-amdhsa--gfx1201
amdhsa.version:
  - 1
  - 2
...

	.end_amdgpu_metadata
